;; amdgpu-corpus repo=ROCm/rocFFT kind=compiled arch=gfx906 opt=O3
	.text
	.amdgcn_target "amdgcn-amd-amdhsa--gfx906"
	.amdhsa_code_object_version 6
	.protected	fft_rtc_fwd_len1088_factors_17_4_4_2_2_wgs_204_tpt_68_halfLds_sp_ip_CI_unitstride_sbrr_C2R_dirReg ; -- Begin function fft_rtc_fwd_len1088_factors_17_4_4_2_2_wgs_204_tpt_68_halfLds_sp_ip_CI_unitstride_sbrr_C2R_dirReg
	.globl	fft_rtc_fwd_len1088_factors_17_4_4_2_2_wgs_204_tpt_68_halfLds_sp_ip_CI_unitstride_sbrr_C2R_dirReg
	.p2align	8
	.type	fft_rtc_fwd_len1088_factors_17_4_4_2_2_wgs_204_tpt_68_halfLds_sp_ip_CI_unitstride_sbrr_C2R_dirReg,@function
fft_rtc_fwd_len1088_factors_17_4_4_2_2_wgs_204_tpt_68_halfLds_sp_ip_CI_unitstride_sbrr_C2R_dirReg: ; @fft_rtc_fwd_len1088_factors_17_4_4_2_2_wgs_204_tpt_68_halfLds_sp_ip_CI_unitstride_sbrr_C2R_dirReg
; %bb.0:
	s_load_dwordx2 s[2:3], s[4:5], 0x50
	s_load_dwordx4 s[8:11], s[4:5], 0x0
	s_load_dwordx2 s[12:13], s[4:5], 0x18
	v_mul_u32_u24_e32 v1, 0x3c4, v0
	v_lshrrev_b32_e32 v1, 16, v1
	v_mad_u64_u32 v[1:2], s[0:1], s6, 3, v[1:2]
	v_mov_b32_e32 v5, 0
	s_waitcnt lgkmcnt(0)
	v_cmp_lt_u64_e64 s[0:1], s[10:11], 2
	v_mov_b32_e32 v2, v5
	v_mov_b32_e32 v3, 0
	;; [unrolled: 1-line block ×3, first 2 shown]
	s_and_b64 vcc, exec, s[0:1]
	v_mov_b32_e32 v4, 0
	v_mov_b32_e32 v9, v1
	s_cbranch_vccnz .LBB0_8
; %bb.1:
	s_load_dwordx2 s[0:1], s[4:5], 0x10
	s_add_u32 s6, s12, 8
	s_addc_u32 s7, s13, 0
	v_mov_b32_e32 v3, 0
	v_mov_b32_e32 v8, v2
	s_waitcnt lgkmcnt(0)
	s_add_u32 s16, s0, 8
	s_mov_b64 s[14:15], 1
	v_mov_b32_e32 v4, 0
	s_addc_u32 s17, s1, 0
	v_mov_b32_e32 v7, v1
.LBB0_2:                                ; =>This Inner Loop Header: Depth=1
	s_load_dwordx2 s[18:19], s[16:17], 0x0
                                        ; implicit-def: $vgpr9_vgpr10
	s_waitcnt lgkmcnt(0)
	v_or_b32_e32 v6, s19, v8
	v_cmp_ne_u64_e32 vcc, 0, v[5:6]
	s_and_saveexec_b64 s[0:1], vcc
	s_xor_b64 s[20:21], exec, s[0:1]
	s_cbranch_execz .LBB0_4
; %bb.3:                                ;   in Loop: Header=BB0_2 Depth=1
	v_cvt_f32_u32_e32 v2, s18
	v_cvt_f32_u32_e32 v6, s19
	s_sub_u32 s0, 0, s18
	s_subb_u32 s1, 0, s19
	v_mac_f32_e32 v2, 0x4f800000, v6
	v_rcp_f32_e32 v2, v2
	v_mul_f32_e32 v2, 0x5f7ffffc, v2
	v_mul_f32_e32 v6, 0x2f800000, v2
	v_trunc_f32_e32 v6, v6
	v_mac_f32_e32 v2, 0xcf800000, v6
	v_cvt_u32_f32_e32 v6, v6
	v_cvt_u32_f32_e32 v2, v2
	v_mul_lo_u32 v9, s0, v6
	v_mul_hi_u32 v10, s0, v2
	v_mul_lo_u32 v12, s1, v2
	v_mul_lo_u32 v11, s0, v2
	v_add_u32_e32 v9, v10, v9
	v_add_u32_e32 v9, v9, v12
	v_mul_hi_u32 v10, v2, v11
	v_mul_lo_u32 v12, v2, v9
	v_mul_hi_u32 v14, v2, v9
	v_mul_hi_u32 v13, v6, v11
	v_mul_lo_u32 v11, v6, v11
	v_mul_hi_u32 v15, v6, v9
	v_add_co_u32_e32 v10, vcc, v10, v12
	v_addc_co_u32_e32 v12, vcc, 0, v14, vcc
	v_mul_lo_u32 v9, v6, v9
	v_add_co_u32_e32 v10, vcc, v10, v11
	v_addc_co_u32_e32 v10, vcc, v12, v13, vcc
	v_addc_co_u32_e32 v11, vcc, 0, v15, vcc
	v_add_co_u32_e32 v9, vcc, v10, v9
	v_addc_co_u32_e32 v10, vcc, 0, v11, vcc
	v_add_co_u32_e32 v2, vcc, v2, v9
	v_addc_co_u32_e32 v6, vcc, v6, v10, vcc
	v_mul_lo_u32 v9, s0, v6
	v_mul_hi_u32 v10, s0, v2
	v_mul_lo_u32 v11, s1, v2
	v_mul_lo_u32 v12, s0, v2
	v_add_u32_e32 v9, v10, v9
	v_add_u32_e32 v9, v9, v11
	v_mul_lo_u32 v13, v2, v9
	v_mul_hi_u32 v14, v2, v12
	v_mul_hi_u32 v15, v2, v9
	;; [unrolled: 1-line block ×3, first 2 shown]
	v_mul_lo_u32 v12, v6, v12
	v_mul_hi_u32 v10, v6, v9
	v_add_co_u32_e32 v13, vcc, v14, v13
	v_addc_co_u32_e32 v14, vcc, 0, v15, vcc
	v_mul_lo_u32 v9, v6, v9
	v_add_co_u32_e32 v12, vcc, v13, v12
	v_addc_co_u32_e32 v11, vcc, v14, v11, vcc
	v_addc_co_u32_e32 v10, vcc, 0, v10, vcc
	v_add_co_u32_e32 v9, vcc, v11, v9
	v_addc_co_u32_e32 v10, vcc, 0, v10, vcc
	v_add_co_u32_e32 v2, vcc, v2, v9
	v_addc_co_u32_e32 v6, vcc, v6, v10, vcc
	v_mad_u64_u32 v[9:10], s[0:1], v7, v6, 0
	v_mul_hi_u32 v11, v7, v2
	v_add_co_u32_e32 v13, vcc, v11, v9
	v_addc_co_u32_e32 v14, vcc, 0, v10, vcc
	v_mad_u64_u32 v[9:10], s[0:1], v8, v2, 0
	v_mad_u64_u32 v[11:12], s[0:1], v8, v6, 0
	v_add_co_u32_e32 v2, vcc, v13, v9
	v_addc_co_u32_e32 v2, vcc, v14, v10, vcc
	v_addc_co_u32_e32 v6, vcc, 0, v12, vcc
	v_add_co_u32_e32 v2, vcc, v2, v11
	v_addc_co_u32_e32 v6, vcc, 0, v6, vcc
	v_mul_lo_u32 v11, s19, v2
	v_mul_lo_u32 v12, s18, v6
	v_mad_u64_u32 v[9:10], s[0:1], s18, v2, 0
	v_add3_u32 v10, v10, v12, v11
	v_sub_u32_e32 v11, v8, v10
	v_mov_b32_e32 v12, s19
	v_sub_co_u32_e32 v9, vcc, v7, v9
	v_subb_co_u32_e64 v11, s[0:1], v11, v12, vcc
	v_subrev_co_u32_e64 v12, s[0:1], s18, v9
	v_subbrev_co_u32_e64 v11, s[0:1], 0, v11, s[0:1]
	v_cmp_le_u32_e64 s[0:1], s19, v11
	v_cndmask_b32_e64 v13, 0, -1, s[0:1]
	v_cmp_le_u32_e64 s[0:1], s18, v12
	v_cndmask_b32_e64 v12, 0, -1, s[0:1]
	v_cmp_eq_u32_e64 s[0:1], s19, v11
	v_cndmask_b32_e64 v11, v13, v12, s[0:1]
	v_add_co_u32_e64 v12, s[0:1], 2, v2
	v_addc_co_u32_e64 v13, s[0:1], 0, v6, s[0:1]
	v_add_co_u32_e64 v14, s[0:1], 1, v2
	v_addc_co_u32_e64 v15, s[0:1], 0, v6, s[0:1]
	v_subb_co_u32_e32 v10, vcc, v8, v10, vcc
	v_cmp_ne_u32_e64 s[0:1], 0, v11
	v_cmp_le_u32_e32 vcc, s19, v10
	v_cndmask_b32_e64 v11, v15, v13, s[0:1]
	v_cndmask_b32_e64 v13, 0, -1, vcc
	v_cmp_le_u32_e32 vcc, s18, v9
	v_cndmask_b32_e64 v9, 0, -1, vcc
	v_cmp_eq_u32_e32 vcc, s19, v10
	v_cndmask_b32_e32 v9, v13, v9, vcc
	v_cmp_ne_u32_e32 vcc, 0, v9
	v_cndmask_b32_e32 v10, v6, v11, vcc
	v_cndmask_b32_e64 v6, v14, v12, s[0:1]
	v_cndmask_b32_e32 v9, v2, v6, vcc
.LBB0_4:                                ;   in Loop: Header=BB0_2 Depth=1
	s_andn2_saveexec_b64 s[0:1], s[20:21]
	s_cbranch_execz .LBB0_6
; %bb.5:                                ;   in Loop: Header=BB0_2 Depth=1
	v_cvt_f32_u32_e32 v2, s18
	s_sub_i32 s20, 0, s18
	v_rcp_iflag_f32_e32 v2, v2
	v_mul_f32_e32 v2, 0x4f7ffffe, v2
	v_cvt_u32_f32_e32 v2, v2
	v_mul_lo_u32 v6, s20, v2
	v_mul_hi_u32 v6, v2, v6
	v_add_u32_e32 v2, v2, v6
	v_mul_hi_u32 v2, v7, v2
	v_mul_lo_u32 v6, v2, s18
	v_add_u32_e32 v9, 1, v2
	v_sub_u32_e32 v6, v7, v6
	v_subrev_u32_e32 v10, s18, v6
	v_cmp_le_u32_e32 vcc, s18, v6
	v_cndmask_b32_e32 v6, v6, v10, vcc
	v_cndmask_b32_e32 v2, v2, v9, vcc
	v_add_u32_e32 v9, 1, v2
	v_cmp_le_u32_e32 vcc, s18, v6
	v_cndmask_b32_e32 v9, v2, v9, vcc
	v_mov_b32_e32 v10, v5
.LBB0_6:                                ;   in Loop: Header=BB0_2 Depth=1
	s_or_b64 exec, exec, s[0:1]
	v_mul_lo_u32 v2, v10, s18
	v_mul_lo_u32 v6, v9, s19
	v_mad_u64_u32 v[11:12], s[0:1], v9, s18, 0
	s_load_dwordx2 s[0:1], s[6:7], 0x0
	s_add_u32 s14, s14, 1
	v_add3_u32 v2, v12, v6, v2
	v_sub_co_u32_e32 v6, vcc, v7, v11
	v_subb_co_u32_e32 v2, vcc, v8, v2, vcc
	s_waitcnt lgkmcnt(0)
	v_mul_lo_u32 v2, s0, v2
	v_mul_lo_u32 v7, s1, v6
	v_mad_u64_u32 v[3:4], s[0:1], s0, v6, v[3:4]
	s_addc_u32 s15, s15, 0
	s_add_u32 s6, s6, 8
	v_add3_u32 v4, v7, v4, v2
	v_mov_b32_e32 v6, s10
	v_mov_b32_e32 v7, s11
	s_addc_u32 s7, s7, 0
	v_cmp_ge_u64_e32 vcc, s[14:15], v[6:7]
	s_add_u32 s16, s16, 8
	s_addc_u32 s17, s17, 0
	s_cbranch_vccnz .LBB0_8
; %bb.7:                                ;   in Loop: Header=BB0_2 Depth=1
	v_mov_b32_e32 v7, v9
	v_mov_b32_e32 v8, v10
	s_branch .LBB0_2
.LBB0_8:
	s_lshl_b64 s[0:1], s[10:11], 3
	s_add_u32 s0, s12, s0
	s_addc_u32 s1, s13, s1
	s_load_dwordx2 s[0:1], s[0:1], 0x0
	s_mov_b32 s6, 0xaaaaaaab
	v_mul_hi_u32 v5, v1, s6
	s_waitcnt lgkmcnt(0)
	v_mul_lo_u32 v6, s0, v10
	v_mul_lo_u32 v7, s1, v9
	v_mad_u64_u32 v[2:3], s[0:1], s0, v9, v[3:4]
	s_load_dwordx2 s[0:1], s[4:5], 0x20
	s_mov_b32 s4, 0x3c3c3c4
	v_lshrrev_b32_e32 v4, 1, v5
	v_mul_hi_u32 v5, v0, s4
	v_lshl_add_u32 v4, v4, 1, v4
	v_sub_u32_e32 v1, v1, v4
	v_add3_u32 v3, v7, v3, v6
	v_mul_u32_u24_e32 v4, 0x441, v1
	v_mul_u32_u24_e32 v1, 0x44, v5
	s_waitcnt lgkmcnt(0)
	v_cmp_gt_u64_e64 s[0:1], s[0:1], v[9:10]
	v_sub_u32_e32 v0, v0, v1
	v_lshlrev_b64 v[34:35], 3, v[2:3]
	v_mov_b32_e32 v1, 0
	v_lshlrev_b32_e32 v44, 3, v4
	v_mov_b32_e32 v32, v0
	s_and_saveexec_b64 s[4:5], s[0:1]
	s_cbranch_execz .LBB0_12
; %bb.9:
	v_mov_b32_e32 v2, s3
	v_add_co_u32_e32 v5, vcc, s2, v34
	v_lshlrev_b64 v[6:7], 3, v[0:1]
	v_addc_co_u32_e32 v3, vcc, v2, v35, vcc
	v_add_co_u32_e32 v6, vcc, v5, v6
	v_addc_co_u32_e32 v7, vcc, v3, v7, vcc
	s_movk_i32 s6, 0x1000
	global_load_dwordx2 v[8:9], v[6:7], off
	global_load_dwordx2 v[10:11], v[6:7], off offset:544
	global_load_dwordx2 v[12:13], v[6:7], off offset:1088
	;; [unrolled: 1-line block ×7, first 2 shown]
	v_add_co_u32_e32 v6, vcc, s6, v6
	v_addc_co_u32_e32 v7, vcc, 0, v7, vcc
	global_load_dwordx2 v[24:25], v[6:7], off offset:256
	global_load_dwordx2 v[26:27], v[6:7], off offset:800
	;; [unrolled: 1-line block ×8, first 2 shown]
	v_lshlrev_b32_e32 v2, 3, v0
	v_add3_u32 v6, 0, v44, v2
	v_add_u32_e32 v2, 0x800, v6
	s_movk_i32 s6, 0x43
	v_add_u32_e32 v7, 0x1000, v6
	v_add_u32_e32 v42, 0x1800, v6
	v_cmp_eq_u32_e32 vcc, s6, v0
	s_waitcnt vmcnt(14)
	ds_write2_b64 v6, v[8:9], v[10:11] offset1:68
	s_waitcnt vmcnt(10)
	ds_write2_b64 v2, v[16:17], v[18:19] offset0:16 offset1:84
	s_waitcnt vmcnt(8)
	ds_write2_b64 v2, v[20:21], v[22:23] offset0:152 offset1:220
	ds_write2_b64 v6, v[12:13], v[14:15] offset0:136 offset1:204
	s_waitcnt vmcnt(6)
	ds_write2_b64 v7, v[24:25], v[26:27] offset0:32 offset1:100
	s_waitcnt vmcnt(4)
	;; [unrolled: 2-line block ×4, first 2 shown]
	ds_write2_b64 v42, v[38:39], v[40:41] offset0:184 offset1:252
	v_mov_b32_e32 v2, v1
	v_mov_b32_e32 v1, v0
	s_and_saveexec_b64 s[6:7], vcc
	s_cbranch_execz .LBB0_11
; %bb.10:
	v_add_co_u32_e32 v0, vcc, 0x2000, v5
	v_addc_co_u32_e32 v1, vcc, 0, v3, vcc
	global_load_dwordx2 v[7:8], v[0:1], off offset:512
	v_mov_b32_e32 v1, 0x43
	v_mov_b32_e32 v2, 0
	;; [unrolled: 1-line block ×3, first 2 shown]
	s_waitcnt vmcnt(0)
	ds_write_b64 v6, v[7:8] offset:8168
.LBB0_11:
	s_or_b64 exec, exec, s[6:7]
	v_mov_b32_e32 v32, v0
	v_mov_b32_e32 v0, v1
	;; [unrolled: 1-line block ×3, first 2 shown]
.LBB0_12:
	s_or_b64 exec, exec, s[4:5]
	v_lshl_add_u32 v42, v4, 3, 0
	v_lshlrev_b32_e32 v2, 3, v32
	v_add_u32_e32 v43, v42, v2
	s_waitcnt lgkmcnt(0)
	s_barrier
	v_sub_u32_e32 v5, v42, v2
	ds_read_b32 v3, v43
	ds_read_b32 v6, v5 offset:8704
	s_add_u32 s6, s8, 0x2178
	v_lshlrev_b64 v[36:37], 3, v[0:1]
	s_addc_u32 s7, s9, 0
	v_cmp_ne_u32_e32 vcc, 0, v32
	s_waitcnt lgkmcnt(0)
	v_add_f32_e32 v2, v6, v3
	v_sub_f32_e32 v3, v3, v6
	s_and_saveexec_b64 s[4:5], vcc
	s_xor_b64 s[4:5], exec, s[4:5]
	s_cbranch_execz .LBB0_14
; %bb.13:
	v_mov_b32_e32 v1, s7
	v_add_co_u32_e32 v0, vcc, s6, v36
	v_addc_co_u32_e32 v1, vcc, v1, v37, vcc
	global_load_dwordx2 v[0:1], v[0:1], off
	ds_read_b32 v6, v5 offset:8708
	ds_read_b32 v7, v43 offset:4
	s_waitcnt lgkmcnt(0)
	v_add_f32_e32 v10, v6, v7
	v_sub_f32_e32 v6, v7, v6
	s_waitcnt vmcnt(0)
	v_fma_f32 v11, v3, v1, v2
	v_fma_f32 v7, v10, v1, v6
	v_fma_f32 v8, -v3, v1, v2
	v_fma_f32 v9, v10, v1, -v6
	v_fma_f32 v6, -v0, v10, v11
	v_fmac_f32_e32 v7, v3, v0
	v_fmac_f32_e32 v8, v0, v10
	;; [unrolled: 1-line block ×3, first 2 shown]
	ds_write_b64 v43, v[6:7]
	ds_write_b64 v5, v[8:9] offset:8704
                                        ; implicit-def: $vgpr2
.LBB0_14:
	s_andn2_saveexec_b64 s[4:5], s[4:5]
	s_cbranch_execz .LBB0_16
; %bb.15:
	ds_write_b64 v43, v[2:3]
	ds_read_b64 v[0:1], v42 offset:4352
	s_waitcnt lgkmcnt(0)
	v_add_f32_e32 v0, v0, v0
	v_mul_f32_e32 v1, -2.0, v1
	ds_write_b64 v42, v[0:1] offset:4352
.LBB0_16:
	s_or_b64 exec, exec, s[4:5]
	v_mov_b32_e32 v33, 0
	v_lshlrev_b64 v[38:39], 3, v[32:33]
	v_mov_b32_e32 v1, s7
	v_add_co_u32_e32 v0, vcc, s6, v38
	v_addc_co_u32_e32 v1, vcc, v1, v39, vcc
	global_load_dwordx2 v[2:3], v[0:1], off offset:544
	global_load_dwordx2 v[6:7], v[0:1], off offset:1088
	;; [unrolled: 1-line block ×4, first 2 shown]
	ds_read_b64 v[12:13], v43 offset:544
	ds_read_b64 v[14:15], v5 offset:8160
	global_load_dwordx2 v[16:17], v[0:1], off offset:2720
	v_lshl_add_u32 v45, v32, 3, 0
	v_lshl_add_u32 v33, v4, 3, v45
	v_cmp_gt_u32_e32 vcc, 64, v32
	s_waitcnt lgkmcnt(0)
	v_add_f32_e32 v18, v12, v14
	v_add_f32_e32 v19, v15, v13
	v_sub_f32_e32 v20, v12, v14
	v_sub_f32_e32 v14, v13, v15
	s_waitcnt vmcnt(4)
	v_fma_f32 v21, v20, v3, v18
	v_fma_f32 v15, v19, v3, v14
	v_fma_f32 v12, -v20, v3, v18
	v_fma_f32 v13, v19, v3, -v14
	v_fma_f32 v14, -v2, v19, v21
	v_fmac_f32_e32 v15, v20, v2
	v_fmac_f32_e32 v12, v2, v19
	;; [unrolled: 1-line block ×3, first 2 shown]
	ds_write_b64 v43, v[14:15] offset:544
	ds_write_b64 v5, v[12:13] offset:8160
	ds_read_b64 v[2:3], v43 offset:1088
	ds_read_b64 v[12:13], v5 offset:7616
	global_load_dwordx2 v[14:15], v[0:1], off offset:3264
	s_waitcnt lgkmcnt(0)
	v_add_f32_e32 v18, v2, v12
	v_add_f32_e32 v19, v13, v3
	v_sub_f32_e32 v20, v2, v12
	v_sub_f32_e32 v12, v3, v13
	s_waitcnt vmcnt(4)
	v_fma_f32 v21, v20, v7, v18
	v_fma_f32 v13, v19, v7, v12
	v_fma_f32 v2, -v20, v7, v18
	v_fma_f32 v3, v19, v7, -v12
	v_fma_f32 v12, -v6, v19, v21
	v_fmac_f32_e32 v13, v20, v6
	v_fmac_f32_e32 v2, v6, v19
	v_fmac_f32_e32 v3, v20, v6
	ds_write_b64 v43, v[12:13] offset:1088
	ds_write_b64 v5, v[2:3] offset:7616
	ds_read_b64 v[2:3], v43 offset:1632
	ds_read_b64 v[6:7], v5 offset:7072
	global_load_dwordx2 v[0:1], v[0:1], off offset:3808
	s_waitcnt lgkmcnt(0)
	v_add_f32_e32 v12, v2, v6
	v_add_f32_e32 v13, v7, v3
	v_sub_f32_e32 v18, v2, v6
	v_sub_f32_e32 v6, v3, v7
	s_waitcnt vmcnt(4)
	v_fma_f32 v19, v18, v9, v12
	v_fma_f32 v7, v13, v9, v6
	v_fma_f32 v2, -v18, v9, v12
	v_fma_f32 v3, v13, v9, -v6
	v_fma_f32 v6, -v8, v13, v19
	v_fmac_f32_e32 v7, v18, v8
	v_fmac_f32_e32 v2, v8, v13
	v_fmac_f32_e32 v3, v18, v8
	ds_write_b64 v43, v[6:7] offset:1632
	ds_write_b64 v5, v[2:3] offset:7072
	ds_read_b64 v[2:3], v43 offset:2176
	ds_read_b64 v[6:7], v5 offset:6528
	s_waitcnt lgkmcnt(0)
	v_add_f32_e32 v8, v2, v6
	v_add_f32_e32 v9, v7, v3
	v_sub_f32_e32 v12, v2, v6
	v_sub_f32_e32 v6, v3, v7
	s_waitcnt vmcnt(3)
	v_fma_f32 v13, v12, v11, v8
	v_fma_f32 v7, v9, v11, v6
	v_fma_f32 v2, -v12, v11, v8
	v_fma_f32 v3, v9, v11, -v6
	v_fma_f32 v6, -v10, v9, v13
	v_fmac_f32_e32 v7, v12, v10
	v_fmac_f32_e32 v2, v10, v9
	v_fmac_f32_e32 v3, v12, v10
	ds_write_b64 v43, v[6:7] offset:2176
	ds_write_b64 v5, v[2:3] offset:6528
	ds_read_b64 v[2:3], v43 offset:2720
	ds_read_b64 v[6:7], v5 offset:5984
	;; [unrolled: 18-line block ×4, first 2 shown]
	s_waitcnt lgkmcnt(0)
	v_add_f32_e32 v4, v2, v6
	v_add_f32_e32 v8, v7, v3
	v_sub_f32_e32 v6, v2, v6
	v_sub_f32_e32 v7, v3, v7
	s_waitcnt vmcnt(0)
	v_fma_f32 v9, v6, v1, v4
	v_fma_f32 v2, v8, v1, v7
	v_fma_f32 v3, -v6, v1, v4
	v_fma_f32 v4, v8, v1, -v7
	v_fma_f32 v1, -v0, v8, v9
	v_fmac_f32_e32 v2, v6, v0
	v_fmac_f32_e32 v3, v0, v8
	;; [unrolled: 1-line block ×3, first 2 shown]
	ds_write_b64 v43, v[1:2] offset:3808
	ds_write_b64 v5, v[3:4] offset:4896
	s_waitcnt lgkmcnt(0)
	s_barrier
	s_barrier
	ds_read_b64 v[40:41], v43
	ds_read2st64_b64 v[0:3], v33 offset0:1 offset1:2
	ds_read2st64_b64 v[4:7], v33 offset0:3 offset1:4
	;; [unrolled: 1-line block ×8, first 2 shown]
	s_waitcnt lgkmcnt(0)
	s_barrier
	s_and_saveexec_b64 s[4:5], vcc
	s_cbranch_execz .LBB0_18
; %bb.17:
	v_add_f32_e32 v51, v41, v1
	v_add_f32_e32 v51, v51, v3
	;; [unrolled: 1-line block ×14, first 2 shown]
	v_sub_f32_e32 v50, v28, v26
	v_add_f32_e32 v48, v26, v28
	v_add_f32_e32 v28, v51, v28
	;; [unrolled: 1-line block ×3, first 2 shown]
	v_sub_f32_e32 v49, v30, v24
	v_add_f32_e32 v53, v28, v30
	v_add_f32_e32 v28, v24, v30
	v_sub_f32_e32 v30, v31, v25
	v_add_f32_e32 v25, v52, v25
	v_add_f32_e32 v54, v25, v27
	;; [unrolled: 1-line block ×4, first 2 shown]
	v_sub_f32_e32 v51, v29, v27
	v_add_f32_e32 v29, v23, v17
	v_add_f32_e32 v53, v24, v26
	v_sub_f32_e32 v27, v17, v23
	v_add_f32_e32 v17, v54, v21
	v_add_f32_e32 v56, v17, v23
	;; [unrolled: 1-line block ×3, first 2 shown]
	v_sub_f32_e32 v52, v16, v22
	v_sub_f32_e32 v31, v18, v20
	v_add_f32_e32 v24, v22, v16
	v_add_f32_e32 v16, v20, v18
	;; [unrolled: 1-line block ×3, first 2 shown]
	v_sub_f32_e32 v55, v4, v14
	v_add_f32_e32 v18, v14, v4
	v_add_f32_e32 v4, v56, v13
	;; [unrolled: 1-line block ×3, first 2 shown]
	v_sub_f32_e32 v26, v19, v21
	v_add_f32_e32 v19, v15, v5
	v_sub_f32_e32 v23, v5, v15
	v_add_f32_e32 v4, v4, v15
	v_add_f32_e32 v5, v53, v12
	v_add_f32_e32 v5, v5, v14
	v_sub_f32_e32 v57, v0, v10
	v_add_f32_e32 v14, v10, v0
	v_add_f32_e32 v0, v4, v9
	;; [unrolled: 4-line block ×4, first 2 shown]
	v_mul_f32_e32 v10, 0x3ee437d1, v21
	v_sub_f32_e32 v54, v6, v12
	v_add_f32_e32 v17, v12, v6
	v_sub_f32_e32 v56, v2, v8
	v_add_f32_e32 v12, v8, v2
	v_mov_b32_e32 v2, v10
	v_mul_f32_e32 v11, 0xbf1a4643, v13
	v_sub_f32_e32 v15, v3, v9
	v_fmac_f32_e32 v2, 0x3f65296c, v57
	v_mov_b32_e32 v3, v11
	v_add_f32_e32 v2, v41, v2
	v_fmac_f32_e32 v3, 0x3f4c4adb, v56
	v_mul_f32_e32 v70, 0xbf7ba420, v19
	v_add_f32_e32 v2, v3, v2
	v_mov_b32_e32 v3, v70
	v_fmac_f32_e32 v3, 0xbe3c28d5, v55
	v_mul_f32_e32 v71, 0xbe8c1d8e, v20
	v_add_f32_e32 v2, v3, v2
	v_mov_b32_e32 v3, v71
	v_fmac_f32_e32 v3, 0xbf763a35, v54
	v_mul_f32_e32 v72, 0x3f3d2fb0, v29
	v_add_f32_e32 v2, v3, v2
	v_mov_b32_e32 v3, v72
	v_fmac_f32_e32 v3, 0xbf2c7751, v52
	v_mul_f32_e32 v73, 0x3f6eb680, v25
	v_add_f32_e32 v2, v3, v2
	v_mov_b32_e32 v3, v73
	v_fmac_f32_e32 v3, 0x3eb8f4ab, v31
	v_mul_f32_e32 v74, 0x3dbcf732, v46
	v_add_f32_e32 v2, v3, v2
	v_mov_b32_e32 v3, v74
	v_fmac_f32_e32 v3, 0x3f7ee86f, v50
	v_mul_f32_e32 v75, 0xbf65296c, v53
	v_add_f32_e32 v2, v3, v2
	v_mov_b32_e32 v3, v75
	v_mul_f32_e32 v76, 0xbf4c4adb, v15
	v_fmac_f32_e32 v3, 0x3ee437d1, v14
	v_mov_b32_e32 v4, v76
	v_add_f32_e32 v3, v40, v3
	v_fmac_f32_e32 v4, 0xbf1a4643, v12
	v_mul_f32_e32 v77, 0x3e3c28d5, v23
	v_add_f32_e32 v3, v4, v3
	v_mov_b32_e32 v4, v77
	v_fmac_f32_e32 v4, 0xbf7ba420, v18
	v_mul_f32_e32 v78, 0x3f763a35, v22
	v_add_f32_e32 v3, v4, v3
	v_mov_b32_e32 v4, v78
	v_fmac_f32_e32 v4, 0xbe8c1d8e, v17
	v_mul_f32_e32 v79, 0x3f2c7751, v27
	v_add_f32_e32 v3, v4, v3
	v_mov_b32_e32 v4, v79
	v_fmac_f32_e32 v4, 0x3f3d2fb0, v24
	v_mul_f32_e32 v80, 0xbeb8f4ab, v26
	v_add_f32_e32 v3, v4, v3
	v_mov_b32_e32 v4, v80
	v_fmac_f32_e32 v4, 0x3f6eb680, v16
	v_mul_f32_e32 v81, 0xbf7ee86f, v51
	v_add_f32_e32 v3, v4, v3
	v_mov_b32_e32 v4, v81
	v_fmac_f32_e32 v4, 0x3dbcf732, v48
	v_mul_f32_e32 v82, 0xbf59a7d5, v47
	v_add_f32_e32 v4, v4, v3
	v_mov_b32_e32 v3, v82
	v_fmac_f32_e32 v3, 0x3f06c442, v49
	v_mul_f32_e32 v83, 0xbf06c442, v30
	v_add_f32_e32 v3, v3, v2
	v_mov_b32_e32 v2, v83
	v_fmac_f32_e32 v2, 0xbf59a7d5, v28
	v_mul_f32_e32 v68, 0x3dbcf732, v21
	v_add_f32_e32 v2, v2, v4
	v_mov_b32_e32 v4, v68
	v_mul_f32_e32 v69, 0xbf7ba420, v13
	v_fmac_f32_e32 v4, 0x3f7ee86f, v57
	v_mov_b32_e32 v5, v69
	v_add_f32_e32 v4, v41, v4
	v_fmac_f32_e32 v5, 0x3e3c28d5, v56
	v_mul_f32_e32 v84, 0xbe8c1d8e, v19
	v_add_f32_e32 v4, v5, v4
	v_mov_b32_e32 v5, v84
	v_fmac_f32_e32 v5, 0xbf763a35, v55
	v_mul_f32_e32 v85, 0x3f6eb680, v20
	v_add_f32_e32 v4, v5, v4
	v_mov_b32_e32 v5, v85
	v_fmac_f32_e32 v5, 0xbeb8f4ab, v54
	v_mul_f32_e32 v86, 0x3ee437d1, v29
	v_add_f32_e32 v4, v5, v4
	v_mov_b32_e32 v5, v86
	v_fmac_f32_e32 v5, 0x3f65296c, v52
	v_mul_f32_e32 v87, 0xbf59a7d5, v25
	v_add_f32_e32 v4, v5, v4
	v_mov_b32_e32 v5, v87
	v_fmac_f32_e32 v5, 0x3f06c442, v31
	v_mul_f32_e32 v88, 0xbf1a4643, v46
	v_add_f32_e32 v4, v5, v4
	v_mov_b32_e32 v5, v88
	v_fmac_f32_e32 v5, 0xbf4c4adb, v50
	v_mul_f32_e32 v89, 0xbf7ee86f, v53
	v_add_f32_e32 v4, v5, v4
	v_mov_b32_e32 v5, v89
	v_mul_f32_e32 v90, 0xbe3c28d5, v15
	v_fmac_f32_e32 v5, 0x3dbcf732, v14
	v_mov_b32_e32 v6, v90
	v_add_f32_e32 v5, v40, v5
	v_fmac_f32_e32 v6, 0xbf7ba420, v12
	v_mul_f32_e32 v91, 0x3f763a35, v23
	v_add_f32_e32 v5, v6, v5
	v_mov_b32_e32 v6, v91
	v_fmac_f32_e32 v6, 0xbe8c1d8e, v18
	v_mul_f32_e32 v92, 0x3eb8f4ab, v22
	v_add_f32_e32 v5, v6, v5
	v_mov_b32_e32 v6, v92
	v_fmac_f32_e32 v6, 0x3f6eb680, v17
	v_mul_f32_e32 v93, 0xbf65296c, v27
	v_add_f32_e32 v5, v6, v5
	v_mov_b32_e32 v6, v93
	v_fmac_f32_e32 v6, 0x3ee437d1, v24
	v_mul_f32_e32 v94, 0xbf06c442, v26
	v_add_f32_e32 v5, v6, v5
	v_mov_b32_e32 v6, v94
	v_fmac_f32_e32 v6, 0xbf59a7d5, v16
	v_mul_f32_e32 v95, 0x3f4c4adb, v51
	v_add_f32_e32 v5, v6, v5
	v_mov_b32_e32 v6, v95
	v_fmac_f32_e32 v6, 0xbf1a4643, v48
	v_mul_f32_e32 v96, 0x3f3d2fb0, v47
	v_add_f32_e32 v6, v6, v5
	v_mov_b32_e32 v5, v96
	v_fmac_f32_e32 v5, 0xbf2c7751, v49
	v_mul_f32_e32 v97, 0x3f2c7751, v30
	v_add_f32_e32 v5, v5, v4
	v_mov_b32_e32 v4, v97
	v_fmac_f32_e32 v4, 0x3f3d2fb0, v28
	v_mul_f32_e32 v66, 0xbe8c1d8e, v21
	v_add_f32_e32 v4, v4, v6
	v_mov_b32_e32 v6, v66
	v_mul_f32_e32 v67, 0xbf59a7d5, v13
	;; [unrolled: 64-line block ×3, first 2 shown]
	v_fmac_f32_e32 v8, 0x3f06c442, v57
	v_mov_b32_e32 v9, v63
	v_add_f32_e32 v8, v41, v8
	v_fmac_f32_e32 v9, 0xbf65296c, v56
	v_mul_f32_e32 v64, 0x3dbcf732, v19
	v_add_f32_e32 v8, v9, v8
	v_mov_b32_e32 v9, v64
	v_fmac_f32_e32 v9, 0x3f7ee86f, v55
	v_mul_f32_e32 v65, 0xbf1a4643, v20
	v_add_f32_e32 v8, v9, v8
	v_mov_b32_e32 v9, v65
	;; [unrolled: 4-line block ×3, first 2 shown]
	v_fmac_f32_e32 v10, 0xbf65296c, v57
	v_fmac_f32_e32 v9, 0x3eb8f4ab, v52
	v_mul_f32_e32 v113, 0xbf7ba420, v25
	s_mov_b32 s13, 0x3ee437d1
	v_add_f32_e32 v10, v41, v10
	v_fmac_f32_e32 v11, 0xbf4c4adb, v56
	v_add_f32_e32 v8, v9, v8
	v_mov_b32_e32 v9, v113
	s_mov_b32 s10, 0xbf1a4643
	v_add_f32_e32 v10, v11, v10
	v_fmac_f32_e32 v70, 0x3e3c28d5, v55
	v_fma_f32 v11, v14, s13, -v75
	v_fmac_f32_e32 v9, 0x3e3c28d5, v31
	v_mul_f32_e32 v114, 0x3f3d2fb0, v46
	s_mov_b32 s6, 0xbf7ba420
	v_add_f32_e32 v10, v70, v10
	v_add_f32_e32 v11, v40, v11
	v_fma_f32 v70, v12, s10, -v76
	v_add_f32_e32 v8, v9, v8
	v_mov_b32_e32 v9, v114
	s_mov_b32 s12, 0xbe8c1d8e
	v_fmac_f32_e32 v71, 0x3f763a35, v54
	v_add_f32_e32 v11, v70, v11
	v_fma_f32 v70, v18, s6, -v77
	v_fmac_f32_e32 v9, 0xbf2c7751, v50
	v_mul_f32_e32 v115, 0xbf06c442, v53
	s_mov_b32 s11, 0x3f3d2fb0
	v_add_f32_e32 v10, v71, v10
	v_fmac_f32_e32 v72, 0x3f2c7751, v52
	v_add_f32_e32 v11, v70, v11
	v_fma_f32 v70, v17, s12, -v78
	v_add_f32_e32 v8, v9, v8
	v_mov_b32_e32 v9, v115
	v_mul_f32_e32 v116, 0x3f65296c, v15
	s_mov_b32 s15, 0x3f6eb680
	v_add_f32_e32 v10, v72, v10
	v_fmac_f32_e32 v73, 0xbeb8f4ab, v31
	v_add_f32_e32 v11, v70, v11
	v_fma_f32 v70, v24, s11, -v79
	v_fmac_f32_e32 v9, 0xbf59a7d5, v14
	v_mov_b32_e32 v58, v116
	s_mov_b32 s14, 0x3dbcf732
	v_add_f32_e32 v10, v73, v10
	v_fmac_f32_e32 v74, 0xbf7ee86f, v50
	v_add_f32_e32 v11, v70, v11
	v_fma_f32 v70, v16, s15, -v80
	v_add_f32_e32 v9, v40, v9
	v_fmac_f32_e32 v58, 0x3ee437d1, v12
	v_mul_f32_e32 v117, 0xbf7ee86f, v23
	s_mov_b32 s7, 0xbf59a7d5
	v_add_f32_e32 v10, v74, v10
	v_add_f32_e32 v11, v70, v11
	v_fma_f32 v70, v48, s14, -v81
	v_fmac_f32_e32 v82, 0xbf06c442, v49
	v_add_f32_e32 v9, v58, v9
	v_mov_b32_e32 v58, v117
	v_add_f32_e32 v70, v70, v11
	v_add_f32_e32 v11, v82, v10
	v_fma_f32 v10, v28, s7, -v83
	v_mul_f32_e32 v72, 0xbf2c7751, v57
	v_fmac_f32_e32 v58, 0x3dbcf732, v18
	v_mul_f32_e32 v118, 0x3f4c4adb, v22
	v_add_f32_e32 v10, v10, v70
	v_mov_b32_e32 v70, v72
	v_mul_f32_e32 v73, 0xbf7ee86f, v56
	v_add_f32_e32 v9, v58, v9
	v_mov_b32_e32 v58, v118
	v_fmac_f32_e32 v70, 0x3f3d2fb0, v21
	v_mov_b32_e32 v71, v73
	v_fmac_f32_e32 v58, 0xbf1a4643, v17
	v_mul_f32_e32 v119, 0xbeb8f4ab, v27
	v_add_f32_e32 v70, v41, v70
	v_fmac_f32_e32 v71, 0x3dbcf732, v13
	v_mul_f32_e32 v74, 0xbf4c4adb, v55
	v_add_f32_e32 v9, v58, v9
	v_mov_b32_e32 v58, v119
	v_add_f32_e32 v70, v71, v70
	v_mov_b32_e32 v71, v74
	v_fmac_f32_e32 v58, 0x3f6eb680, v24
	v_mul_f32_e32 v120, 0xbe3c28d5, v26
	v_fmac_f32_e32 v71, 0xbf1a4643, v19
	v_mul_f32_e32 v75, 0xbe3c28d5, v54
	v_add_f32_e32 v9, v58, v9
	v_mov_b32_e32 v58, v120
	v_add_f32_e32 v70, v71, v70
	v_mov_b32_e32 v71, v75
	v_fmac_f32_e32 v58, 0xbf7ba420, v16
	v_mul_f32_e32 v121, 0x3f2c7751, v51
	v_fmac_f32_e32 v71, 0xbf7ba420, v20
	v_mul_f32_e32 v76, 0x3f06c442, v52
	v_add_f32_e32 v9, v58, v9
	v_mov_b32_e32 v58, v121
	v_add_f32_e32 v70, v71, v70
	v_mov_b32_e32 v71, v76
	v_fmac_f32_e32 v58, 0x3f3d2fb0, v48
	v_mul_f32_e32 v122, 0xbe8c1d8e, v47
	v_fmac_f32_e32 v71, 0xbf59a7d5, v29
	v_mul_f32_e32 v77, 0x3f763a35, v31
	v_add_f32_e32 v58, v58, v9
	v_mov_b32_e32 v9, v122
	v_add_f32_e32 v70, v71, v70
	v_mov_b32_e32 v71, v77
	v_fmac_f32_e32 v9, 0x3f763a35, v49
	v_mul_f32_e32 v123, 0xbf763a35, v30
	v_fmac_f32_e32 v68, 0xbf7ee86f, v57
	v_fmac_f32_e32 v71, 0xbe8c1d8e, v25
	v_mul_f32_e32 v78, 0x3f65296c, v50
	v_add_f32_e32 v9, v9, v8
	v_mov_b32_e32 v8, v123
	v_add_f32_e32 v68, v41, v68
	v_fmac_f32_e32 v69, 0xbe3c28d5, v56
	v_add_f32_e32 v70, v71, v70
	v_mov_b32_e32 v71, v78
	v_fmac_f32_e32 v8, 0xbe8c1d8e, v28
	v_mul_f32_e32 v60, 0xbf7ba420, v21
	v_add_f32_e32 v68, v69, v68
	v_fmac_f32_e32 v84, 0x3f763a35, v55
	v_fma_f32 v69, v14, s14, -v89
	v_fmac_f32_e32 v71, 0x3ee437d1, v46
	v_mul_f32_e32 v79, 0xbf2c7751, v53
	v_add_f32_e32 v8, v8, v58
	v_mov_b32_e32 v58, v60
	v_mul_f32_e32 v61, 0x3f6eb680, v13
	v_add_f32_e32 v68, v84, v68
	v_add_f32_e32 v69, v40, v69
	v_fma_f32 v84, v12, s6, -v90
	v_add_f32_e32 v70, v71, v70
	v_fma_f32 v71, v14, s11, -v79
	v_mul_f32_e32 v80, 0xbf7ee86f, v15
	v_fmac_f32_e32 v58, 0x3e3c28d5, v57
	v_mov_b32_e32 v59, v61
	v_fmac_f32_e32 v85, 0x3eb8f4ab, v54
	v_add_f32_e32 v69, v84, v69
	v_fma_f32 v84, v18, s12, -v91
	v_add_f32_e32 v71, v40, v71
	v_fma_f32 v81, v12, s14, -v80
	v_add_f32_e32 v58, v41, v58
	v_fmac_f32_e32 v59, 0xbeb8f4ab, v56
	v_mul_f32_e32 v124, 0xbf59a7d5, v19
	v_add_f32_e32 v68, v85, v68
	v_fmac_f32_e32 v86, 0xbf65296c, v52
	v_add_f32_e32 v69, v84, v69
	v_fma_f32 v84, v17, s15, -v92
	v_add_f32_e32 v71, v81, v71
	v_mul_f32_e32 v81, 0xbf4c4adb, v23
	v_add_f32_e32 v58, v59, v58
	v_mov_b32_e32 v59, v124
	v_fmac_f32_e32 v62, 0xbf06c442, v57
	v_add_f32_e32 v68, v86, v68
	v_fmac_f32_e32 v87, 0xbf06c442, v31
	v_add_f32_e32 v69, v84, v69
	v_fma_f32 v84, v24, s13, -v93
	v_fma_f32 v82, v18, s10, -v81
	v_fmac_f32_e32 v59, 0x3f06c442, v55
	v_mul_f32_e32 v125, 0x3f3d2fb0, v20
	v_add_f32_e32 v62, v41, v62
	v_fmac_f32_e32 v63, 0x3f65296c, v56
	v_add_f32_e32 v68, v87, v68
	v_fmac_f32_e32 v88, 0x3f4c4adb, v50
	v_add_f32_e32 v69, v84, v69
	v_fma_f32 v84, v16, s7, -v94
	v_add_f32_e32 v71, v82, v71
	v_mul_f32_e32 v82, 0xbe3c28d5, v22
	v_add_f32_e32 v58, v59, v58
	v_mov_b32_e32 v59, v125
	v_add_f32_e32 v62, v63, v62
	v_fmac_f32_e32 v64, 0xbf7ee86f, v55
	v_fma_f32 v63, v14, s7, -v115
	v_add_f32_e32 v68, v88, v68
	v_add_f32_e32 v69, v84, v69
	v_fma_f32 v84, v48, s10, -v95
	v_fmac_f32_e32 v96, 0x3f2c7751, v49
	v_fma_f32 v83, v17, s6, -v82
	v_fmac_f32_e32 v59, 0xbf2c7751, v54
	v_mul_f32_e32 v126, 0xbf1a4643, v29
	v_add_f32_e32 v62, v64, v62
	v_add_f32_e32 v63, v40, v63
	v_fma_f32 v64, v12, s13, -v116
	v_add_f32_e32 v84, v84, v69
	v_add_f32_e32 v69, v96, v68
	v_fma_f32 v68, v28, s11, -v97
	v_add_f32_e32 v71, v83, v71
	v_mul_f32_e32 v83, 0x3f06c442, v27
	v_add_f32_e32 v58, v59, v58
	v_mov_b32_e32 v59, v126
	v_fmac_f32_e32 v65, 0x3f4c4adb, v54
	v_add_f32_e32 v63, v64, v63
	v_fma_f32 v64, v18, s14, -v117
	v_add_f32_e32 v68, v68, v84
	v_fma_f32 v84, v24, s7, -v83
	v_fmac_f32_e32 v59, 0x3f4c4adb, v52
	v_mul_f32_e32 v127, 0x3ee437d1, v25
	v_add_f32_e32 v62, v65, v62
	v_fmac_f32_e32 v112, 0xbeb8f4ab, v52
	v_add_f32_e32 v63, v64, v63
	v_fma_f32 v64, v17, s10, -v118
	v_add_f32_e32 v71, v84, v71
	v_mul_f32_e32 v84, 0x3f763a35, v26
	v_add_f32_e32 v58, v59, v58
	v_mov_b32_e32 v59, v127
	v_add_f32_e32 v62, v112, v62
	v_fmac_f32_e32 v113, 0xbe3c28d5, v31
	v_add_f32_e32 v63, v64, v63
	v_fma_f32 v64, v24, s15, -v119
	v_fma_f32 v85, v16, s12, -v84
	v_fmac_f32_e32 v59, 0xbf65296c, v31
	v_mul_f32_e32 v128, 0xbe8c1d8e, v46
	v_add_f32_e32 v62, v113, v62
	v_fmac_f32_e32 v114, 0x3f2c7751, v50
	v_add_f32_e32 v63, v64, v63
	v_fma_f32 v64, v16, s6, -v120
	v_add_f32_e32 v71, v85, v71
	v_mul_f32_e32 v85, 0x3f65296c, v51
	v_add_f32_e32 v58, v59, v58
	v_mov_b32_e32 v59, v128
	v_add_f32_e32 v62, v114, v62
	v_add_f32_e32 v63, v64, v63
	v_fma_f32 v64, v48, s11, -v121
	v_fmac_f32_e32 v122, 0xbf763a35, v49
	v_fma_f32 v86, v48, s13, -v85
	v_mul_f32_e32 v87, 0x3eb8f4ab, v49
	v_fmac_f32_e32 v59, 0x3f763a35, v50
	v_mul_f32_e32 v129, 0xbe3c28d5, v53
	v_add_f32_e32 v64, v64, v63
	v_add_f32_e32 v63, v122, v62
	v_fma_f32 v62, v28, s12, -v123
	v_mul_f32_e32 v112, 0xbf4c4adb, v57
	v_add_f32_e32 v86, v86, v71
	v_mov_b32_e32 v71, v87
	v_add_f32_e32 v58, v59, v58
	v_mov_b32_e32 v59, v129
	v_mul_f32_e32 v130, 0x3eb8f4ab, v15
	v_add_f32_e32 v62, v62, v64
	v_mov_b32_e32 v64, v112
	v_mul_f32_e32 v113, 0x3f763a35, v56
	v_fmac_f32_e32 v71, 0x3f6eb680, v47
	v_mul_f32_e32 v88, 0x3eb8f4ab, v30
	v_fmac_f32_e32 v59, 0xbf7ba420, v14
	v_mov_b32_e32 v131, v130
	v_fmac_f32_e32 v60, 0xbe3c28d5, v57
	v_fmac_f32_e32 v64, 0xbf1a4643, v21
	v_mov_b32_e32 v65, v113
	v_fmac_f32_e32 v66, 0xbf763a35, v57
	v_add_f32_e32 v71, v71, v70
	v_fma_f32 v70, v28, s15, -v88
	v_mul_f32_e32 v57, 0xbeb8f4ab, v57
	v_add_f32_e32 v59, v40, v59
	v_fmac_f32_e32 v131, 0x3f6eb680, v12
	v_fmac_f32_e32 v61, 0x3eb8f4ab, v56
	v_add_f32_e32 v64, v41, v64
	v_fmac_f32_e32 v65, 0xbe8c1d8e, v13
	v_mul_f32_e32 v114, 0xbeb8f4ab, v55
	v_fmac_f32_e32 v67, 0x3f06c442, v56
	v_add_f32_e32 v70, v70, v86
	v_mov_b32_e32 v86, v57
	v_mul_f32_e32 v56, 0xbf2c7751, v56
	v_add_f32_e32 v59, v131, v59
	v_mul_f32_e32 v131, 0xbf06c442, v23
	v_add_f32_e32 v64, v65, v64
	v_mov_b32_e32 v65, v114
	v_fmac_f32_e32 v86, 0x3f6eb680, v21
	v_mov_b32_e32 v89, v56
	v_mov_b32_e32 v132, v131
	v_fmac_f32_e32 v124, 0xbf06c442, v55
	v_fmac_f32_e32 v65, 0x3f6eb680, v19
	v_mul_f32_e32 v115, 0xbf06c442, v54
	v_fmac_f32_e32 v98, 0x3f2c7751, v55
	v_add_f32_e32 v86, v41, v86
	v_fmac_f32_e32 v89, 0x3f3d2fb0, v13
	v_mul_f32_e32 v55, 0xbf65296c, v55
	v_fmac_f32_e32 v132, 0xbf59a7d5, v18
	v_add_f32_e32 v64, v65, v64
	v_mov_b32_e32 v65, v115
	v_add_f32_e32 v86, v89, v86
	v_mov_b32_e32 v89, v55
	v_add_f32_e32 v59, v132, v59
	v_mul_f32_e32 v132, 0x3f2c7751, v22
	v_fmac_f32_e32 v125, 0x3f2c7751, v54
	v_fmac_f32_e32 v65, 0xbf59a7d5, v20
	v_mul_f32_e32 v116, 0x3f7ee86f, v52
	v_fmac_f32_e32 v99, 0xbf65296c, v54
	v_fmac_f32_e32 v89, 0x3ee437d1, v19
	v_mul_f32_e32 v54, 0xbf7ee86f, v54
	v_mov_b32_e32 v133, v132
	v_add_f32_e32 v64, v65, v64
	v_mov_b32_e32 v65, v116
	v_add_f32_e32 v86, v89, v86
	v_mov_b32_e32 v89, v54
	v_fmac_f32_e32 v133, 0x3f3d2fb0, v17
	v_fmac_f32_e32 v126, 0xbf4c4adb, v52
	;; [unrolled: 1-line block ×3, first 2 shown]
	v_mul_f32_e32 v117, 0xbf2c7751, v31
	v_fmac_f32_e32 v100, 0xbe3c28d5, v52
	v_fmac_f32_e32 v89, 0x3dbcf732, v20
	v_mul_f32_e32 v52, 0xbf763a35, v52
	v_add_f32_e32 v59, v133, v59
	v_mul_f32_e32 v133, 0xbf4c4adb, v27
	v_add_f32_e32 v64, v65, v64
	v_mov_b32_e32 v65, v117
	v_add_f32_e32 v86, v89, v86
	v_mov_b32_e32 v89, v52
	v_mov_b32_e32 v134, v133
	v_fmac_f32_e32 v65, 0x3f3d2fb0, v25
	v_mul_f32_e32 v118, 0xbe3c28d5, v50
	v_fmac_f32_e32 v89, 0xbe8c1d8e, v29
	v_fmac_f32_e32 v134, 0xbf1a4643, v24
	v_add_f32_e32 v60, v41, v60
	v_add_f32_e32 v64, v65, v64
	v_mov_b32_e32 v65, v118
	v_add_f32_e32 v86, v89, v86
	v_mul_f32_e32 v89, 0xbf4c4adb, v31
	v_add_f32_e32 v59, v134, v59
	v_mul_f32_e32 v134, 0x3f65296c, v26
	v_add_f32_e32 v60, v61, v60
	v_fmac_f32_e32 v127, 0x3f65296c, v31
	v_fma_f32 v61, v14, s6, -v129
	v_fmac_f32_e32 v65, 0xbf7ba420, v46
	v_mul_f32_e32 v119, 0xbf4c4adb, v53
	v_fmac_f32_e32 v101, 0x3f7ee86f, v31
	v_mov_b32_e32 v31, v89
	v_mov_b32_e32 v135, v134
	v_add_f32_e32 v60, v124, v60
	v_fmac_f32_e32 v128, 0xbf763a35, v50
	v_add_f32_e32 v61, v40, v61
	v_fma_f32 v124, v12, s15, -v130
	v_add_f32_e32 v64, v65, v64
	v_fma_f32 v65, v14, s10, -v119
	v_mul_f32_e32 v120, 0x3f763a35, v15
	v_fmac_f32_e32 v102, 0xbeb8f4ab, v50
	v_fmac_f32_e32 v31, 0xbf1a4643, v25
	v_mul_f32_e32 v50, 0xbf06c442, v50
	v_fmac_f32_e32 v135, 0x3ee437d1, v16
	v_add_f32_e32 v61, v124, v61
	v_fma_f32 v124, v18, s7, -v131
	v_add_f32_e32 v65, v40, v65
	v_fma_f32 v121, v12, s12, -v120
	v_add_f32_e32 v31, v31, v86
	v_mov_b32_e32 v86, v50
	v_add_f32_e32 v59, v135, v59
	v_mul_f32_e32 v135, 0xbf763a35, v51
	v_add_f32_e32 v60, v125, v60
	v_add_f32_e32 v61, v124, v61
	v_fma_f32 v124, v17, s11, -v132
	v_add_f32_e32 v65, v121, v65
	v_mul_f32_e32 v121, 0xbeb8f4ab, v23
	v_fmac_f32_e32 v86, 0xbf59a7d5, v46
	v_mul_f32_e32 v53, 0xbeb8f4ab, v53
	v_mov_b32_e32 v136, v135
	v_add_f32_e32 v60, v126, v60
	v_add_f32_e32 v61, v124, v61
	v_fma_f32 v124, v24, s10, -v133
	v_fma_f32 v122, v18, s15, -v121
	v_add_f32_e32 v31, v86, v31
	v_fma_f32 v86, v14, s15, -v53
	v_mul_f32_e32 v15, 0xbf2c7751, v15
	v_fmac_f32_e32 v136, 0xbe8c1d8e, v48
	v_mul_f32_e32 v137, 0x3dbcf732, v47
	v_add_f32_e32 v60, v127, v60
	v_add_f32_e32 v61, v124, v61
	v_fma_f32 v124, v16, s13, -v134
	v_add_f32_e32 v65, v122, v65
	v_mul_f32_e32 v122, 0xbf06c442, v22
	v_add_f32_e32 v86, v40, v86
	v_fma_f32 v90, v12, s11, -v15
	v_add_f32_e32 v136, v136, v59
	v_mov_b32_e32 v59, v137
	v_mul_f32_e32 v138, 0x3f7ee86f, v30
	v_add_f32_e32 v60, v128, v60
	v_add_f32_e32 v61, v124, v61
	v_fma_f32 v124, v48, s12, -v135
	v_fmac_f32_e32 v137, 0x3f7ee86f, v49
	v_fma_f32 v123, v17, s7, -v122
	v_add_f32_e32 v86, v90, v86
	v_mul_f32_e32 v90, 0xbf65296c, v23
	v_add_f32_e32 v124, v124, v61
	v_add_f32_e32 v61, v137, v60
	v_fma_f32 v60, v28, s14, -v138
	v_add_f32_e32 v65, v123, v65
	v_mul_f32_e32 v123, 0x3f7ee86f, v27
	v_fma_f32 v23, v18, s13, -v90
	v_add_f32_e32 v60, v60, v124
	v_fma_f32 v124, v24, s14, -v123
	v_add_f32_e32 v23, v23, v86
	v_mul_f32_e32 v86, 0xbf7ee86f, v22
	v_add_f32_e32 v65, v124, v65
	v_mul_f32_e32 v124, 0xbf2c7751, v26
	v_fma_f32 v22, v17, s14, -v86
	v_mul_f32_e32 v91, 0xbf763a35, v27
	v_fma_f32 v125, v16, s11, -v124
	v_add_f32_e32 v22, v22, v23
	v_fma_f32 v23, v24, s12, -v91
	v_mul_f32_e32 v92, 0xbf4c4adb, v26
	v_add_f32_e32 v65, v125, v65
	v_mul_f32_e32 v125, 0xbe3c28d5, v51
	v_add_f32_e32 v22, v23, v22
	v_fma_f32 v23, v16, s10, -v92
	v_mul_f32_e32 v51, 0xbf06c442, v51
	v_add_f32_e32 v22, v23, v22
	v_fma_f32 v23, v48, s7, -v51
	;; [unrolled: 3-line block ×3, first 2 shown]
	v_add_f32_e32 v22, v26, v22
	v_fma_f32 v26, v21, s10, -v112
	v_add_f32_e32 v26, v41, v26
	v_fma_f32 v27, v13, s12, -v113
	;; [unrolled: 2-line block ×7, first 2 shown]
	v_fmac_f32_e32 v119, 0xbf1a4643, v14
	v_add_f32_e32 v26, v27, v26
	v_add_f32_e32 v27, v40, v119
	v_fmac_f32_e32 v120, 0xbe8c1d8e, v12
	v_add_f32_e32 v27, v120, v27
	v_fmac_f32_e32 v121, 0x3f6eb680, v18
	;; [unrolled: 2-line block ×3, first 2 shown]
	v_fma_f32 v126, v48, s6, -v125
	v_mul_f32_e32 v127, 0x3f65296c, v49
	v_add_f32_e32 v27, v122, v27
	v_fmac_f32_e32 v123, 0x3dbcf732, v24
	v_add_f32_e32 v126, v126, v65
	v_mov_b32_e32 v65, v127
	v_add_f32_e32 v27, v123, v27
	v_fmac_f32_e32 v124, 0x3f3d2fb0, v16
	v_fmac_f32_e32 v59, 0xbf7ee86f, v49
	v_fmac_f32_e32 v65, 0x3ee437d1, v47
	v_mul_f32_e32 v128, 0x3f65296c, v30
	v_fmac_f32_e32 v110, 0xbf4c4adb, v49
	v_mul_f32_e32 v49, 0xbe3c28d5, v49
	v_add_f32_e32 v27, v124, v27
	v_fmac_f32_e32 v125, 0xbf7ba420, v48
	v_add_f32_e32 v65, v65, v64
	v_fma_f32 v64, v28, s13, -v128
	v_mov_b32_e32 v23, v49
	v_add_f32_e32 v30, v125, v27
	v_fma_f32 v27, v47, s13, -v127
	v_fmac_f32_e32 v128, 0x3ee437d1, v28
	v_fmac_f32_e32 v23, 0xbf7ba420, v47
	v_add_f32_e32 v27, v27, v26
	v_add_f32_e32 v26, v128, v30
	v_fma_f32 v30, v21, s11, -v72
	v_add_f32_e32 v23, v23, v31
	v_add_f32_e32 v30, v41, v30
	v_fma_f32 v31, v13, s14, -v73
	v_add_f32_e32 v30, v31, v30
	v_fma_f32 v31, v19, s10, -v74
	v_add_f32_e32 v30, v31, v30
	v_fma_f32 v31, v20, s6, -v75
	v_add_f32_e32 v66, v41, v66
	v_add_f32_e32 v30, v31, v30
	v_fma_f32 v31, v29, s7, -v76
	v_fma_f32 v21, v21, s15, -v57
	v_add_f32_e32 v66, v67, v66
	v_fma_f32 v67, v14, s12, -v103
	v_add_f32_e32 v30, v31, v30
	v_fma_f32 v31, v25, s12, -v77
	v_fmac_f32_e32 v79, 0x3f3d2fb0, v14
	v_fmac_f32_e32 v53, 0x3f6eb680, v14
	v_add_f32_e32 v14, v41, v21
	v_fma_f32 v13, v13, s11, -v56
	v_add_f32_e32 v30, v31, v30
	v_fma_f32 v31, v46, s13, -v78
	;; [unrolled: 2-line block ×3, first 2 shown]
	v_add_f32_e32 v66, v98, v66
	v_add_f32_e32 v67, v40, v67
	v_fma_f32 v98, v12, s7, -v104
	v_add_f32_e32 v30, v31, v30
	v_add_f32_e32 v31, v40, v79
	v_fmac_f32_e32 v80, 0x3dbcf732, v12
	v_add_f32_e32 v21, v40, v53
	v_add_f32_e32 v13, v14, v13
	v_fma_f32 v14, v20, s14, -v54
	v_fmac_f32_e32 v15, 0x3f3d2fb0, v12
	v_add_f32_e32 v67, v98, v67
	v_fma_f32 v98, v18, s11, -v105
	v_add_f32_e32 v31, v80, v31
	v_fmac_f32_e32 v81, 0xbf1a4643, v18
	v_add_f32_e32 v13, v14, v13
	v_fma_f32 v14, v29, s12, -v52
	v_add_f32_e32 v12, v15, v21
	v_fmac_f32_e32 v90, 0x3ee437d1, v18
	v_add_f32_e32 v66, v99, v66
	v_add_f32_e32 v67, v98, v67
	v_fma_f32 v98, v17, s13, -v106
	v_add_f32_e32 v31, v81, v31
	v_fmac_f32_e32 v82, 0xbf7ba420, v17
	v_add_f32_e32 v13, v14, v13
	v_fma_f32 v14, v25, s10, -v89
	v_add_f32_e32 v12, v90, v12
	v_fmac_f32_e32 v86, 0x3dbcf732, v17
	v_add_f32_e32 v66, v100, v66
	;; [unrolled: 9-line block ×4, first 2 shown]
	v_mov_b32_e32 v58, v138
	v_add_f32_e32 v66, v102, v66
	v_add_f32_e32 v67, v98, v67
	v_fma_f32 v98, v48, s15, -v109
	v_add_f32_e32 v31, v84, v31
	v_fmac_f32_e32 v85, 0x3ee437d1, v48
	v_add_f32_e32 v13, v14, v13
	v_add_f32_e32 v12, v92, v12
	v_fmac_f32_e32 v51, 0xbf59a7d5, v48
	v_mul_u32_u24_e32 v14, 0x88, v32
	v_fmac_f32_e32 v58, 0x3dbcf732, v28
	v_add_f32_e32 v98, v98, v67
	v_add_f32_e32 v67, v110, v66
	v_fma_f32 v66, v28, s10, -v111
	v_add_f32_e32 v72, v85, v31
	v_fma_f32 v31, v47, s15, -v87
	v_fmac_f32_e32 v88, 0x3f6eb680, v28
	v_add_f32_e32 v12, v51, v12
	v_fmac_f32_e32 v93, 0xbf7ba420, v28
	v_add3_u32 v14, 0, v14, v44
	v_add_f32_e32 v58, v58, v136
	v_add_f32_e32 v64, v64, v126
	v_add_f32_e32 v66, v66, v98
	v_add_f32_e32 v31, v31, v30
	v_add_f32_e32 v30, v88, v72
	v_add_f32_e32 v12, v93, v12
	ds_write2_b64 v14, v[0:1], v[22:23] offset1:1
	ds_write2_b64 v14, v[70:71], v[10:11] offset0:2 offset1:3
	ds_write2_b64 v14, v[68:69], v[66:67] offset0:4 offset1:5
	;; [unrolled: 1-line block ×7, first 2 shown]
	ds_write_b64 v14, v[12:13] offset:128
.LBB0_18:
	s_or_b64 exec, exec, s[4:5]
	s_movk_i32 s4, 0xf1
	v_mul_lo_u16_sdwa v0, v32, s4 dst_sel:DWORD dst_unused:UNUSED_PAD src0_sel:BYTE_0 src1_sel:DWORD
	v_lshrrev_b16_e32 v31, 12, v0
	v_mul_lo_u16_e32 v0, 17, v31
	v_sub_u16_e32 v76, v32, v0
	v_mov_b32_e32 v6, 3
	v_mul_u32_u24_sdwa v0, v76, v6 dst_sel:DWORD dst_unused:UNUSED_PAD src0_sel:BYTE_0 src1_sel:DWORD
	v_lshlrev_b32_e32 v0, 3, v0
	s_waitcnt lgkmcnt(0)
	s_barrier
	global_load_dwordx2 v[40:41], v0, s[8:9] offset:16
	global_load_dwordx4 v[7:10], v0, s[8:9]
	v_add_u16_e32 v0, 0x44, v32
	v_mul_lo_u16_sdwa v1, v0, s4 dst_sel:DWORD dst_unused:UNUSED_PAD src0_sel:BYTE_0 src1_sel:DWORD
	v_lshrrev_b16_e32 v77, 12, v1
	v_mul_lo_u16_e32 v1, 17, v77
	v_sub_u16_e32 v78, v0, v1
	v_mul_u32_u24_sdwa v0, v78, v6 dst_sel:DWORD dst_unused:UNUSED_PAD src0_sel:BYTE_0 src1_sel:DWORD
	v_lshlrev_b32_e32 v0, 3, v0
	v_add_u16_e32 v79, 0x88, v32
	global_load_dwordx2 v[66:67], v0, s[8:9] offset:16
	global_load_dwordx4 v[11:14], v0, s[8:9]
	v_mul_lo_u16_sdwa v0, v79, s4 dst_sel:DWORD dst_unused:UNUSED_PAD src0_sel:BYTE_0 src1_sel:DWORD
	v_lshrrev_b16_e32 v80, 12, v0
	v_mul_lo_u16_e32 v0, 17, v80
	v_sub_u16_e32 v81, v79, v0
	v_add_u32_e32 v82, 0xcc, v32
	s_mov_b32 s4, 0xf0f1
	v_mul_u32_u24_sdwa v0, v81, v6 dst_sel:DWORD dst_unused:UNUSED_PAD src0_sel:BYTE_0 src1_sel:DWORD
	v_mul_u32_u24_sdwa v83, v82, s4 dst_sel:DWORD dst_unused:UNUSED_PAD src0_sel:WORD_0 src1_sel:DWORD
	v_lshlrev_b32_e32 v0, 3, v0
	v_lshrrev_b32_e32 v84, 20, v83
	global_load_dwordx4 v[15:18], v0, s[8:9]
	global_load_dwordx2 v[68:69], v0, s[8:9] offset:16
	v_mul_lo_u16_e32 v0, 17, v84
	v_sub_u16_e32 v85, v82, v0
	v_mul_u32_u24_e32 v0, 3, v85
	v_lshlrev_b32_e32 v0, 3, v0
	global_load_dwordx4 v[19:22], v0, s[8:9]
	global_load_dwordx2 v[70:71], v0, s[8:9] offset:16
	v_add_u32_e32 v1, 0x400, v33
	v_add_u32_e32 v4, 0xc00, v33
	;; [unrolled: 1-line block ×3, first 2 shown]
	ds_read2_b64 v[23:26], v33 offset0:68 offset1:136
	v_add_u32_e32 v0, 0x800, v33
	v_add_u32_e32 v5, 0x1000, v33
	v_add_u32_e32 v3, 0x1800, v33
	ds_read_b64 v[72:73], v43
	ds_read_b64 v[74:75], v33 offset:8160
	ds_read2_b64 v[27:30], v1 offset0:76 offset1:144
	ds_read2_b64 v[46:49], v4 offset0:92 offset1:160
	;; [unrolled: 1-line block ×6, first 2 shown]
	s_movk_i32 s4, 0x220
	v_mad_u32_u24 v31, v31, s4, 0
	s_waitcnt vmcnt(0) lgkmcnt(0)
	s_barrier
	v_mul_f32_e32 v88, v41, v53
	v_mul_f32_e32 v86, v8, v30
	;; [unrolled: 1-line block ×6, first 2 shown]
	v_fmac_f32_e32 v8, v7, v30
	v_fma_f32 v29, v7, v29, -v86
	v_fma_f32 v7, v9, v48, -v87
	v_fmac_f32_e32 v10, v9, v49
	v_mul_f32_e32 v89, v55, v12
	v_mul_f32_e32 v90, v54, v12
	v_fma_f32 v30, v54, v11, -v89
	v_fmac_f32_e32 v90, v55, v11
	v_mul_f32_e32 v12, v59, v14
	v_mul_f32_e32 v91, v58, v14
	;; [unrolled: 1-line block ×3, first 2 shown]
	v_fma_f32 v9, v40, v52, -v88
	v_fmac_f32_e32 v41, v40, v53
	v_fma_f32 v40, v58, v13, -v12
	v_mul_f32_e32 v92, v57, v16
	v_mul_f32_e32 v93, v56, v16
	v_fmac_f32_e32 v91, v59, v13
	v_fma_f32 v48, v62, v66, -v14
	v_fma_f32 v49, v56, v15, -v92
	v_mul_f32_e32 v11, v47, v20
	v_fma_f32 v55, v46, v19, -v11
	v_mul_f32_e32 v46, v46, v20
	v_mul_f32_e32 v11, v51, v22
	v_fmac_f32_e32 v93, v57, v15
	v_fmac_f32_e32 v46, v47, v19
	v_fma_f32 v47, v50, v21, -v11
	v_mul_f32_e32 v50, v50, v22
	v_mul_f32_e32 v11, v75, v71
	v_sub_f32_e32 v13, v72, v7
	v_sub_f32_e32 v14, v73, v10
	;; [unrolled: 1-line block ×4, first 2 shown]
	v_mul_f32_e32 v16, v61, v18
	v_mul_f32_e32 v94, v60, v18
	;; [unrolled: 1-line block ×3, first 2 shown]
	v_fmac_f32_e32 v50, v51, v21
	v_fma_f32 v51, v74, v70, -v11
	v_fma_f32 v10, v72, 2.0, -v13
	v_fma_f32 v11, v73, 2.0, -v14
	;; [unrolled: 1-line block ×4, first 2 shown]
	v_fma_f32 v53, v64, v68, -v18
	v_mul_f32_e32 v56, v74, v71
	v_sub_f32_e32 v7, v10, v7
	v_sub_f32_e32 v8, v11, v8
	;; [unrolled: 1-line block ×3, first 2 shown]
	v_fma_f32 v52, v60, v17, -v16
	v_fmac_f32_e32 v56, v75, v70
	v_fma_f32 v9, v10, 2.0, -v7
	v_fma_f32 v10, v11, 2.0, -v8
	v_sub_f32_e32 v11, v13, v15
	v_sub_f32_e32 v21, v23, v40
	v_fma_f32 v15, v30, 2.0, -v20
	v_sub_f32_e32 v30, v49, v53
	v_fmac_f32_e32 v94, v61, v17
	v_fma_f32 v17, v23, 2.0, -v21
	v_sub_f32_e32 v40, v25, v52
	v_fma_f32 v23, v49, 2.0, -v30
	v_sub_f32_e32 v52, v27, v47
	v_sub_f32_e32 v53, v28, v50
	;; [unrolled: 1-line block ×4, first 2 shown]
	v_fma_f32 v47, v27, 2.0, -v52
	v_fma_f32 v48, v28, 2.0, -v53
	;; [unrolled: 1-line block ×4, first 2 shown]
	v_mul_f32_e32 v67, v62, v67
	v_sub_f32_e32 v27, v47, v27
	v_sub_f32_e32 v28, v48, v28
	v_fmac_f32_e32 v67, v63, v66
	v_fma_f32 v46, v47, 2.0, -v27
	v_fma_f32 v47, v48, 2.0, -v28
	v_sub_f32_e32 v48, v52, v50
	v_mul_f32_e32 v54, v64, v69
	v_add_f32_e32 v12, v14, v12
	v_sub_f32_e32 v22, v24, v91
	v_sub_f32_e32 v19, v90, v67
	v_fma_f32 v50, v52, 2.0, -v48
	v_lshlrev_b32_sdwa v52, v6, v76 dst_sel:DWORD dst_unused:UNUSED_PAD src0_sel:DWORD src1_sel:BYTE_0
	v_fmac_f32_e32 v54, v65, v68
	v_fma_f32 v13, v13, 2.0, -v11
	v_fma_f32 v14, v14, 2.0, -v12
	;; [unrolled: 1-line block ×4, first 2 shown]
	v_add3_u32 v31, v31, v52, v44
	v_sub_f32_e32 v15, v17, v15
	v_sub_f32_e32 v16, v18, v16
	;; [unrolled: 1-line block ×3, first 2 shown]
	v_add_f32_e32 v20, v22, v20
	v_sub_f32_e32 v41, v26, v94
	v_sub_f32_e32 v29, v93, v54
	ds_write2_b64 v31, v[9:10], v[13:14] offset1:17
	ds_write2_b64 v31, v[7:8], v[11:12] offset0:34 offset1:51
	v_mad_u32_u24 v7, v77, s4, 0
	v_lshlrev_b32_sdwa v8, v6, v78 dst_sel:DWORD dst_unused:UNUSED_PAD src0_sel:DWORD src1_sel:BYTE_0
	v_fma_f32 v17, v17, 2.0, -v15
	v_fma_f32 v18, v18, 2.0, -v16
	;; [unrolled: 1-line block ×7, first 2 shown]
	v_add3_u32 v7, v7, v8, v44
	v_sub_f32_e32 v23, v25, v23
	v_sub_f32_e32 v24, v26, v24
	;; [unrolled: 1-line block ×3, first 2 shown]
	v_add_f32_e32 v30, v41, v30
	ds_write2_b64 v7, v[17:18], v[21:22] offset1:17
	ds_write2_b64 v7, v[15:16], v[19:20] offset0:34 offset1:51
	v_mad_u32_u24 v7, v80, s4, 0
	v_lshlrev_b32_sdwa v8, v6, v81 dst_sel:DWORD dst_unused:UNUSED_PAD src0_sel:DWORD src1_sel:BYTE_0
	v_fma_f32 v25, v25, 2.0, -v23
	v_fma_f32 v26, v26, 2.0, -v24
	;; [unrolled: 1-line block ×4, first 2 shown]
	v_add3_u32 v7, v7, v8, v44
	v_add_f32_e32 v49, v53, v49
	ds_write2_b64 v7, v[25:26], v[40:41] offset1:17
	ds_write2_b64 v7, v[23:24], v[29:30] offset0:34 offset1:51
	v_mad_u32_u24 v7, v84, s4, 0
	v_lshlrev_b32_e32 v8, 3, v85
	v_fma_f32 v51, v53, 2.0, -v49
	v_add3_u32 v7, v7, v8, v44
	ds_write2_b64 v7, v[46:47], v[50:51] offset1:17
	ds_write2_b64 v7, v[27:28], v[48:49] offset0:34 offset1:51
	v_mul_u32_u24_e32 v7, 3, v32
	v_lshlrev_b32_e32 v11, 3, v7
	s_waitcnt lgkmcnt(0)
	s_barrier
	global_load_dwordx4 v[7:10], v11, s[8:9] offset:408
	global_load_dwordx2 v[40:41], v11, s[8:9] offset:424
	s_movk_i32 s4, 0x79
	v_mul_lo_u16_sdwa v11, v79, s4 dst_sel:DWORD dst_unused:UNUSED_PAD src0_sel:BYTE_0 src1_sel:DWORD
	v_lshrrev_b16_e32 v11, 13, v11
	v_mul_lo_u16_e32 v11, 0x44, v11
	v_sub_u16_e32 v31, v79, v11
	v_mul_u32_u24_sdwa v11, v31, v6 dst_sel:DWORD dst_unused:UNUSED_PAD src0_sel:BYTE_0 src1_sel:DWORD
	v_lshlrev_b32_e32 v15, 3, v11
	global_load_dwordx4 v[11:14], v15, s[8:9] offset:408
	global_load_dwordx2 v[62:63], v15, s[8:9] offset:424
	v_lshrrev_b32_e32 v15, 22, v83
	v_mul_lo_u16_e32 v15, 0x44, v15
	v_sub_u16_e32 v70, v82, v15
	v_mul_u32_u24_e32 v15, 3, v70
	v_lshlrev_b32_e32 v19, 3, v15
	global_load_dwordx4 v[15:18], v19, s[8:9] offset:408
	global_load_dwordx2 v[64:65], v19, s[8:9] offset:424
	ds_read_b64 v[66:67], v43
	ds_read2_b64 v[19:22], v1 offset0:76 offset1:144
	ds_read2_b64 v[23:26], v4 offset0:92 offset1:160
	;; [unrolled: 1-line block ×5, first 2 shown]
	ds_read2_b32 v[68:69], v5 offset0:200 offset1:201
	ds_read2_b64 v[54:57], v5 offset0:168 offset1:236
	ds_read2_b64 v[58:61], v3 offset0:184 offset1:252
	v_lshlrev_b32_sdwa v6, v6, v31 dst_sel:DWORD dst_unused:UNUSED_PAD src0_sel:DWORD src1_sel:BYTE_0
	v_add3_u32 v6, 0, v6, v44
	v_add_u32_e32 v6, 0x1000, v6
	s_waitcnt vmcnt(0) lgkmcnt(0)
	s_barrier
	s_movk_i32 s4, 0x1000
	v_mul_f32_e32 v71, v8, v22
	v_fma_f32 v71, v7, v21, -v71
	v_mul_f32_e32 v21, v8, v21
	v_fmac_f32_e32 v21, v7, v22
	v_mul_f32_e32 v22, v10, v26
	v_fma_f32 v22, v9, v25, -v22
	v_mul_f32_e32 v25, v10, v25
	v_fmac_f32_e32 v25, v9, v26
	;; [unrolled: 4-line block ×4, first 2 shown]
	v_mul_f32_e32 v7, v69, v10
	v_fma_f32 v51, v9, v68, -v7
	v_mul_f32_e32 v68, v10, v68
	v_mul_f32_e32 v7, v30, v41
	v_fmac_f32_e32 v68, v69, v9
	v_fma_f32 v69, v29, v40, -v7
	v_mul_f32_e32 v29, v29, v41
	v_mul_f32_e32 v7, v53, v12
	v_fmac_f32_e32 v29, v30, v40
	v_fma_f32 v30, v52, v11, -v7
	v_mul_f32_e32 v7, v55, v14
	v_mul_f32_e32 v40, v52, v12
	v_fma_f32 v41, v54, v13, -v7
	v_mul_f32_e32 v7, v59, v63
	v_fmac_f32_e32 v40, v53, v11
	v_mul_f32_e32 v52, v54, v14
	v_fma_f32 v53, v58, v62, -v7
	v_mul_f32_e32 v7, v24, v16
	v_fmac_f32_e32 v52, v55, v13
	v_mul_f32_e32 v54, v58, v63
	v_fma_f32 v55, v23, v15, -v7
	v_mul_f32_e32 v58, v23, v16
	v_mul_f32_e32 v7, v57, v18
	v_fmac_f32_e32 v54, v59, v62
	v_fmac_f32_e32 v58, v24, v15
	v_fma_f32 v59, v56, v17, -v7
	v_mul_f32_e32 v56, v56, v18
	v_sub_f32_e32 v11, v21, v27
	v_sub_f32_e32 v23, v46, v51
	;; [unrolled: 1-line block ×3, first 2 shown]
	v_fmac_f32_e32 v56, v57, v17
	v_mul_f32_e32 v7, v61, v65
	v_sub_f32_e32 v13, v66, v22
	v_sub_f32_e32 v14, v67, v25
	;; [unrolled: 1-line block ×3, first 2 shown]
	v_fma_f32 v8, v21, 2.0, -v11
	v_fma_f32 v17, v46, 2.0, -v23
	v_fma_f32 v18, v47, 2.0, -v24
	v_sub_f32_e32 v22, v28, v69
	v_sub_f32_e32 v21, v50, v29
	;; [unrolled: 1-line block ×6, first 2 shown]
	v_fma_f32 v57, v60, v64, -v7
	v_mul_f32_e32 v60, v60, v65
	v_fma_f32 v9, v66, 2.0, -v13
	v_fma_f32 v10, v67, 2.0, -v14
	;; [unrolled: 1-line block ×8, first 2 shown]
	v_fmac_f32_e32 v60, v61, v64
	v_sub_f32_e32 v7, v9, v7
	v_sub_f32_e32 v8, v10, v8
	;; [unrolled: 1-line block ×3, first 2 shown]
	v_add_f32_e32 v12, v14, v12
	v_fma_f32 v16, v50, 2.0, -v21
	v_sub_f32_e32 v25, v27, v25
	v_sub_f32_e32 v26, v28, v26
	;; [unrolled: 1-line block ×3, first 2 shown]
	v_add_f32_e32 v30, v46, v47
	v_fma_f32 v9, v9, 2.0, -v7
	v_fma_f32 v10, v10, 2.0, -v8
	;; [unrolled: 1-line block ×4, first 2 shown]
	v_sub_f32_e32 v15, v17, v15
	v_sub_f32_e32 v16, v18, v16
	;; [unrolled: 1-line block ×3, first 2 shown]
	v_add_f32_e32 v22, v24, v22
	v_fma_f32 v27, v27, 2.0, -v25
	v_fma_f32 v28, v28, 2.0, -v26
	;; [unrolled: 1-line block ×4, first 2 shown]
	v_sub_f32_e32 v50, v19, v59
	v_sub_f32_e32 v51, v20, v56
	;; [unrolled: 1-line block ×4, first 2 shown]
	v_fma_f32 v17, v17, 2.0, -v15
	v_fma_f32 v18, v18, 2.0, -v16
	;; [unrolled: 1-line block ×8, first 2 shown]
	ds_write2_b64 v33, v[9:10], v[13:14] offset1:68
	ds_write2_b64 v33, v[7:8], v[11:12] offset0:136 offset1:204
	ds_write2_b64 v0, v[17:18], v[23:24] offset0:16 offset1:84
	;; [unrolled: 1-line block ×5, first 2 shown]
	v_lshlrev_b32_e32 v6, 3, v70
	v_sub_f32_e32 v19, v46, v19
	v_sub_f32_e32 v20, v47, v20
	v_sub_f32_e32 v48, v50, v48
	v_add_f32_e32 v49, v51, v49
	v_add3_u32 v6, 0, v6, v44
	v_fma_f32 v46, v46, 2.0, -v19
	v_fma_f32 v47, v47, 2.0, -v20
	;; [unrolled: 1-line block ×4, first 2 shown]
	v_add_u32_e32 v6, 0x1800, v6
	ds_write2_b64 v6, v[46:47], v[50:51] offset0:48 offset1:116
	ds_write2_b64 v6, v[19:20], v[48:49] offset0:184 offset1:252
	v_mov_b32_e32 v6, s9
	v_add_co_u32_e32 v30, vcc, s8, v36
	v_addc_co_u32_e32 v31, vcc, v6, v37, vcc
	s_waitcnt lgkmcnt(0)
	s_barrier
	global_load_dwordx2 v[40:41], v[30:31], off offset:2040
	v_add_co_u32_e32 v46, vcc, s8, v38
	v_addc_co_u32_e32 v47, vcc, v6, v39, vcc
	global_load_dwordx2 v[48:49], v[46:47], off offset:2584
	global_load_dwordx2 v[50:51], v[46:47], off offset:3128
	;; [unrolled: 1-line block ×3, first 2 shown]
	v_add_u32_e32 v56, v45, v44
	ds_read2_b64 v[6:9], v4 offset0:92 offset1:160
	ds_read2_b64 v[10:13], v33 offset0:68 offset1:136
	;; [unrolled: 1-line block ×7, first 2 shown]
	ds_read_b64 v[44:45], v43
	ds_read_b64 v[54:55], v33 offset:8160
	s_waitcnt vmcnt(0) lgkmcnt(0)
	s_barrier
	v_mul_f32_e32 v57, v41, v9
	v_fma_f32 v57, v40, v8, -v57
	v_mul_f32_e32 v58, v41, v8
	v_mul_f32_e32 v8, v49, v15
	v_fma_f32 v59, v48, v14, -v8
	v_mul_f32_e32 v8, v51, v17
	v_fma_f32 v61, v50, v16, -v8
	;; [unrolled: 2-line block ×4, first 2 shown]
	v_mul_f32_e32 v41, v24, v41
	v_mul_f32_e32 v8, v37, v49
	v_fmac_f32_e32 v58, v40, v9
	v_mul_f32_e32 v60, v49, v14
	v_fmac_f32_e32 v41, v25, v40
	v_fma_f32 v40, v36, v48, -v8
	v_mul_f32_e32 v49, v36, v49
	v_mul_f32_e32 v8, v39, v51
	v_fmac_f32_e32 v60, v48, v15
	v_mul_f32_e32 v62, v51, v16
	v_mul_f32_e32 v64, v53, v22
	v_fmac_f32_e32 v49, v37, v48
	v_fma_f32 v48, v38, v50, -v8
	v_mul_f32_e32 v51, v38, v51
	v_mul_f32_e32 v8, v55, v53
	;; [unrolled: 1-line block ×3, first 2 shown]
	v_fmac_f32_e32 v62, v50, v17
	v_fmac_f32_e32 v64, v52, v23
	;; [unrolled: 1-line block ×3, first 2 shown]
	v_fma_f32 v50, v54, v52, -v8
	v_fmac_f32_e32 v53, v55, v52
	v_sub_f32_e32 v8, v44, v57
	v_sub_f32_e32 v9, v45, v58
	;; [unrolled: 1-line block ×4, first 2 shown]
	v_fma_f32 v14, v44, 2.0, -v8
	v_fma_f32 v15, v45, 2.0, -v9
	;; [unrolled: 1-line block ×4, first 2 shown]
	v_sub_f32_e32 v22, v12, v61
	v_sub_f32_e32 v23, v13, v62
	;; [unrolled: 1-line block ×12, first 2 shown]
	ds_write_b64 v33, v[8:9] offset:2176
	ds_write2_b64 v33, v[14:15], v[10:11] offset1:68
	v_add_u32_e32 v8, 0x800, v56
	v_fma_f32 v12, v12, 2.0, -v22
	v_fma_f32 v13, v13, 2.0, -v23
	;; [unrolled: 1-line block ×12, first 2 shown]
	ds_write2_b64 v8, v[16:17], v[22:23] offset0:84 offset1:152
	ds_write2_b64 v33, v[12:13], v[18:19] offset0:136 offset1:204
	ds_write_b64 v33, v[20:21] offset:4352
	ds_write_b64 v33, v[36:37] offset:6528
	v_add_u32_e32 v8, 0xc00, v56
	v_add_u32_e32 v57, 0x1800, v56
	;; [unrolled: 1-line block ×3, first 2 shown]
	ds_write2_b64 v8, v[24:25], v[26:27] offset0:92 offset1:228
	ds_write2_b64 v57, v[38:39], v[40:41] offset0:116 offset1:184
	;; [unrolled: 1-line block ×3, first 2 shown]
	ds_write_b64 v56, v[44:45] offset:8160
	v_add_co_u32_e32 v6, vcc, s4, v30
	v_addc_co_u32_e32 v7, vcc, 0, v31, vcc
	s_waitcnt lgkmcnt(0)
	s_barrier
	global_load_dwordx2 v[30:31], v[6:7], off offset:120
	v_add_co_u32_e32 v6, vcc, s4, v46
	v_addc_co_u32_e32 v7, vcc, 0, v47, vcc
	global_load_dwordx2 v[36:37], v[6:7], off offset:664
	global_load_dwordx2 v[38:39], v[6:7], off offset:1208
	;; [unrolled: 1-line block ×7, first 2 shown]
	ds_read2_b64 v[6:9], v4 offset0:92 offset1:160
	ds_read2_b64 v[10:13], v33 offset0:68 offset1:136
	;; [unrolled: 1-line block ×7, first 2 shown]
	ds_read_b64 v[52:53], v43
	ds_read_b64 v[54:55], v33 offset:8160
	s_waitcnt vmcnt(0) lgkmcnt(0)
	s_barrier
	v_mul_f32_e32 v5, v31, v9
	v_fma_f32 v5, v30, v8, -v5
	v_mul_f32_e32 v8, v31, v8
	v_fmac_f32_e32 v8, v30, v9
	v_mul_f32_e32 v9, v37, v15
	v_fma_f32 v9, v36, v14, -v9
	v_mul_f32_e32 v14, v37, v14
	v_fmac_f32_e32 v14, v36, v15
	;; [unrolled: 4-line block ×5, first 2 shown]
	v_mul_f32_e32 v25, v2, v47
	v_fma_f32 v25, v1, v46, -v25
	v_mul_f32_e32 v30, v1, v47
	v_mul_f32_e32 v1, v4, v49
	v_fma_f32 v31, v3, v48, -v1
	v_mul_f32_e32 v36, v3, v49
	v_mul_f32_e32 v1, v55, v51
	v_mul_f32_e32 v38, v54, v51
	v_fmac_f32_e32 v30, v2, v46
	v_fmac_f32_e32 v36, v4, v48
	v_fma_f32 v37, v54, v50, -v1
	v_fmac_f32_e32 v38, v55, v50
	v_sub_f32_e32 v1, v52, v5
	v_sub_f32_e32 v2, v53, v8
	;; [unrolled: 1-line block ×8, first 2 shown]
	v_fma_f32 v3, v52, 2.0, -v1
	v_fma_f32 v4, v53, 2.0, -v2
	;; [unrolled: 1-line block ×8, first 2 shown]
	v_sub_f32_e32 v22, v20, v23
	v_sub_f32_e32 v23, v21, v24
	v_sub_f32_e32 v24, v26, v25
	v_sub_f32_e32 v25, v27, v30
	v_sub_f32_e32 v30, v28, v31
	v_sub_f32_e32 v31, v29, v36
	v_sub_f32_e32 v36, v6, v37
	v_sub_f32_e32 v37, v7, v38
	ds_write_b64 v33, v[1:2] offset:4352
	ds_write2_b64 v33, v[3:4], v[10:11] offset1:68
	ds_write2_b64 v58, v[8:9], v[14:15] offset0:100 offset1:168
	ds_write2_b64 v33, v[12:13], v[18:19] offset0:136 offset1:204
	v_add_u32_e32 v1, 0x1400, v56
	v_fma_f32 v20, v20, 2.0, -v22
	v_fma_f32 v21, v21, 2.0, -v23
	;; [unrolled: 1-line block ×8, first 2 shown]
	ds_write2_b64 v1, v[16:17], v[22:23] offset0:108 offset1:176
	ds_write2_b64 v0, v[20:21], v[26:27] offset0:16 offset1:84
	;; [unrolled: 1-line block ×4, first 2 shown]
	ds_write_b64 v56, v[36:37] offset:8160
	s_waitcnt lgkmcnt(0)
	s_barrier
	s_and_saveexec_b64 s[4:5], s[0:1]
	s_cbranch_execz .LBB0_20
; %bb.19:
	v_lshl_add_u32 v6, v32, 3, v42
	v_mov_b32_e32 v33, 0
	ds_read2_b64 v[0:3], v6 offset1:68
	v_mov_b32_e32 v4, s3
	v_add_co_u32_e32 v7, vcc, s2, v34
	v_addc_co_u32_e32 v8, vcc, v4, v35, vcc
	v_lshlrev_b64 v[4:5], 3, v[32:33]
	v_add_u32_e32 v9, 0x800, v6
	v_add_co_u32_e32 v4, vcc, v7, v4
	v_addc_co_u32_e32 v5, vcc, v8, v5, vcc
	s_waitcnt lgkmcnt(0)
	global_store_dwordx2 v[4:5], v[0:1], off
	v_add_u32_e32 v0, 0x44, v32
	v_mov_b32_e32 v1, v33
	v_lshlrev_b64 v[0:1], 3, v[0:1]
	v_add_u32_e32 v4, 0x88, v32
	v_add_co_u32_e32 v0, vcc, v7, v0
	v_addc_co_u32_e32 v1, vcc, v8, v1, vcc
	global_store_dwordx2 v[0:1], v[2:3], off
	v_mov_b32_e32 v5, v33
	ds_read2_b64 v[0:3], v6 offset0:136 offset1:204
	v_lshlrev_b64 v[4:5], 3, v[4:5]
	v_add_co_u32_e32 v4, vcc, v7, v4
	v_addc_co_u32_e32 v5, vcc, v8, v5, vcc
	s_waitcnt lgkmcnt(0)
	global_store_dwordx2 v[4:5], v[0:1], off
	v_add_u32_e32 v0, 0xcc, v32
	v_mov_b32_e32 v1, v33
	v_lshlrev_b64 v[0:1], 3, v[0:1]
	v_add_u32_e32 v4, 0x110, v32
	v_add_co_u32_e32 v0, vcc, v7, v0
	v_addc_co_u32_e32 v1, vcc, v8, v1, vcc
	global_store_dwordx2 v[0:1], v[2:3], off
	v_mov_b32_e32 v5, v33
	ds_read2_b64 v[0:3], v9 offset0:16 offset1:84
	v_lshlrev_b64 v[4:5], 3, v[4:5]
	;; [unrolled: 14-line block ×3, first 2 shown]
	v_add_u32_e32 v9, 0x1000, v6
	v_add_co_u32_e32 v4, vcc, v7, v4
	v_addc_co_u32_e32 v5, vcc, v8, v5, vcc
	s_waitcnt lgkmcnt(0)
	global_store_dwordx2 v[4:5], v[0:1], off
	v_add_u32_e32 v0, 0x1dc, v32
	v_mov_b32_e32 v1, v33
	v_lshlrev_b64 v[0:1], 3, v[0:1]
	v_add_u32_e32 v4, 0x220, v32
	v_add_co_u32_e32 v0, vcc, v7, v0
	v_addc_co_u32_e32 v1, vcc, v8, v1, vcc
	global_store_dwordx2 v[0:1], v[2:3], off
	v_mov_b32_e32 v5, v33
	ds_read2_b64 v[0:3], v9 offset0:32 offset1:100
	v_lshlrev_b64 v[4:5], 3, v[4:5]
	v_add_u32_e32 v6, 0x1800, v6
	v_add_co_u32_e32 v4, vcc, v7, v4
	v_addc_co_u32_e32 v5, vcc, v8, v5, vcc
	s_waitcnt lgkmcnt(0)
	global_store_dwordx2 v[4:5], v[0:1], off
	v_add_u32_e32 v0, 0x264, v32
	v_mov_b32_e32 v1, v33
	v_lshlrev_b64 v[0:1], 3, v[0:1]
	v_add_u32_e32 v4, 0x2a8, v32
	v_add_co_u32_e32 v0, vcc, v7, v0
	v_addc_co_u32_e32 v1, vcc, v8, v1, vcc
	global_store_dwordx2 v[0:1], v[2:3], off
	v_mov_b32_e32 v5, v33
	ds_read2_b64 v[0:3], v9 offset0:168 offset1:236
	v_lshlrev_b64 v[4:5], 3, v[4:5]
	v_add_co_u32_e32 v4, vcc, v7, v4
	v_addc_co_u32_e32 v5, vcc, v8, v5, vcc
	s_waitcnt lgkmcnt(0)
	global_store_dwordx2 v[4:5], v[0:1], off
	v_add_u32_e32 v0, 0x2ec, v32
	v_mov_b32_e32 v1, v33
	v_lshlrev_b64 v[0:1], 3, v[0:1]
	v_add_u32_e32 v4, 0x330, v32
	v_add_co_u32_e32 v0, vcc, v7, v0
	v_addc_co_u32_e32 v1, vcc, v8, v1, vcc
	global_store_dwordx2 v[0:1], v[2:3], off
	v_mov_b32_e32 v5, v33
	ds_read2_b64 v[0:3], v6 offset0:48 offset1:116
	v_lshlrev_b64 v[4:5], 3, v[4:5]
	;; [unrolled: 14-line block ×3, first 2 shown]
	v_add_u32_e32 v32, 0x3fc, v32
	v_add_co_u32_e32 v4, vcc, v7, v4
	v_addc_co_u32_e32 v5, vcc, v8, v5, vcc
	s_waitcnt lgkmcnt(0)
	global_store_dwordx2 v[4:5], v[0:1], off
	v_lshlrev_b64 v[0:1], 3, v[32:33]
	v_add_co_u32_e32 v0, vcc, v7, v0
	v_addc_co_u32_e32 v1, vcc, v8, v1, vcc
	global_store_dwordx2 v[0:1], v[2:3], off
.LBB0_20:
	s_endpgm
	.section	.rodata,"a",@progbits
	.p2align	6, 0x0
	.amdhsa_kernel fft_rtc_fwd_len1088_factors_17_4_4_2_2_wgs_204_tpt_68_halfLds_sp_ip_CI_unitstride_sbrr_C2R_dirReg
		.amdhsa_group_segment_fixed_size 0
		.amdhsa_private_segment_fixed_size 0
		.amdhsa_kernarg_size 88
		.amdhsa_user_sgpr_count 6
		.amdhsa_user_sgpr_private_segment_buffer 1
		.amdhsa_user_sgpr_dispatch_ptr 0
		.amdhsa_user_sgpr_queue_ptr 0
		.amdhsa_user_sgpr_kernarg_segment_ptr 1
		.amdhsa_user_sgpr_dispatch_id 0
		.amdhsa_user_sgpr_flat_scratch_init 0
		.amdhsa_user_sgpr_private_segment_size 0
		.amdhsa_uses_dynamic_stack 0
		.amdhsa_system_sgpr_private_segment_wavefront_offset 0
		.amdhsa_system_sgpr_workgroup_id_x 1
		.amdhsa_system_sgpr_workgroup_id_y 0
		.amdhsa_system_sgpr_workgroup_id_z 0
		.amdhsa_system_sgpr_workgroup_info 0
		.amdhsa_system_vgpr_workitem_id 0
		.amdhsa_next_free_vgpr 139
		.amdhsa_next_free_sgpr 22
		.amdhsa_reserve_vcc 1
		.amdhsa_reserve_flat_scratch 0
		.amdhsa_float_round_mode_32 0
		.amdhsa_float_round_mode_16_64 0
		.amdhsa_float_denorm_mode_32 3
		.amdhsa_float_denorm_mode_16_64 3
		.amdhsa_dx10_clamp 1
		.amdhsa_ieee_mode 1
		.amdhsa_fp16_overflow 0
		.amdhsa_exception_fp_ieee_invalid_op 0
		.amdhsa_exception_fp_denorm_src 0
		.amdhsa_exception_fp_ieee_div_zero 0
		.amdhsa_exception_fp_ieee_overflow 0
		.amdhsa_exception_fp_ieee_underflow 0
		.amdhsa_exception_fp_ieee_inexact 0
		.amdhsa_exception_int_div_zero 0
	.end_amdhsa_kernel
	.text
.Lfunc_end0:
	.size	fft_rtc_fwd_len1088_factors_17_4_4_2_2_wgs_204_tpt_68_halfLds_sp_ip_CI_unitstride_sbrr_C2R_dirReg, .Lfunc_end0-fft_rtc_fwd_len1088_factors_17_4_4_2_2_wgs_204_tpt_68_halfLds_sp_ip_CI_unitstride_sbrr_C2R_dirReg
                                        ; -- End function
	.section	.AMDGPU.csdata,"",@progbits
; Kernel info:
; codeLenInByte = 11752
; NumSgprs: 26
; NumVgprs: 139
; ScratchSize: 0
; MemoryBound: 0
; FloatMode: 240
; IeeeMode: 1
; LDSByteSize: 0 bytes/workgroup (compile time only)
; SGPRBlocks: 3
; VGPRBlocks: 34
; NumSGPRsForWavesPerEU: 26
; NumVGPRsForWavesPerEU: 139
; Occupancy: 1
; WaveLimiterHint : 1
; COMPUTE_PGM_RSRC2:SCRATCH_EN: 0
; COMPUTE_PGM_RSRC2:USER_SGPR: 6
; COMPUTE_PGM_RSRC2:TRAP_HANDLER: 0
; COMPUTE_PGM_RSRC2:TGID_X_EN: 1
; COMPUTE_PGM_RSRC2:TGID_Y_EN: 0
; COMPUTE_PGM_RSRC2:TGID_Z_EN: 0
; COMPUTE_PGM_RSRC2:TIDIG_COMP_CNT: 0
	.type	__hip_cuid_24b320526db39c80,@object ; @__hip_cuid_24b320526db39c80
	.section	.bss,"aw",@nobits
	.globl	__hip_cuid_24b320526db39c80
__hip_cuid_24b320526db39c80:
	.byte	0                               ; 0x0
	.size	__hip_cuid_24b320526db39c80, 1

	.ident	"AMD clang version 19.0.0git (https://github.com/RadeonOpenCompute/llvm-project roc-6.4.0 25133 c7fe45cf4b819c5991fe208aaa96edf142730f1d)"
	.section	".note.GNU-stack","",@progbits
	.addrsig
	.addrsig_sym __hip_cuid_24b320526db39c80
	.amdgpu_metadata
---
amdhsa.kernels:
  - .args:
      - .actual_access:  read_only
        .address_space:  global
        .offset:         0
        .size:           8
        .value_kind:     global_buffer
      - .offset:         8
        .size:           8
        .value_kind:     by_value
      - .actual_access:  read_only
        .address_space:  global
        .offset:         16
        .size:           8
        .value_kind:     global_buffer
      - .actual_access:  read_only
        .address_space:  global
        .offset:         24
        .size:           8
        .value_kind:     global_buffer
      - .offset:         32
        .size:           8
        .value_kind:     by_value
      - .actual_access:  read_only
        .address_space:  global
        .offset:         40
        .size:           8
        .value_kind:     global_buffer
      - .actual_access:  read_only
        .address_space:  global
        .offset:         48
        .size:           8
        .value_kind:     global_buffer
      - .offset:         56
        .size:           4
        .value_kind:     by_value
      - .actual_access:  read_only
        .address_space:  global
        .offset:         64
        .size:           8
        .value_kind:     global_buffer
      - .actual_access:  read_only
        .address_space:  global
        .offset:         72
        .size:           8
        .value_kind:     global_buffer
      - .address_space:  global
        .offset:         80
        .size:           8
        .value_kind:     global_buffer
    .group_segment_fixed_size: 0
    .kernarg_segment_align: 8
    .kernarg_segment_size: 88
    .language:       OpenCL C
    .language_version:
      - 2
      - 0
    .max_flat_workgroup_size: 204
    .name:           fft_rtc_fwd_len1088_factors_17_4_4_2_2_wgs_204_tpt_68_halfLds_sp_ip_CI_unitstride_sbrr_C2R_dirReg
    .private_segment_fixed_size: 0
    .sgpr_count:     26
    .sgpr_spill_count: 0
    .symbol:         fft_rtc_fwd_len1088_factors_17_4_4_2_2_wgs_204_tpt_68_halfLds_sp_ip_CI_unitstride_sbrr_C2R_dirReg.kd
    .uniform_work_group_size: 1
    .uses_dynamic_stack: false
    .vgpr_count:     139
    .vgpr_spill_count: 0
    .wavefront_size: 64
amdhsa.target:   amdgcn-amd-amdhsa--gfx906
amdhsa.version:
  - 1
  - 2
...

	.end_amdgpu_metadata
